;; amdgpu-corpus repo=ROCm/rocFFT kind=compiled arch=gfx1201 opt=O3
	.text
	.amdgcn_target "amdgcn-amd-amdhsa--gfx1201"
	.amdhsa_code_object_version 6
	.protected	fft_rtc_fwd_len2401_factors_7_7_7_7_wgs_49_tpt_49_halfLds_dp_ip_CI_unitstride_sbrr_dirReg ; -- Begin function fft_rtc_fwd_len2401_factors_7_7_7_7_wgs_49_tpt_49_halfLds_dp_ip_CI_unitstride_sbrr_dirReg
	.globl	fft_rtc_fwd_len2401_factors_7_7_7_7_wgs_49_tpt_49_halfLds_dp_ip_CI_unitstride_sbrr_dirReg
	.p2align	8
	.type	fft_rtc_fwd_len2401_factors_7_7_7_7_wgs_49_tpt_49_halfLds_dp_ip_CI_unitstride_sbrr_dirReg,@function
fft_rtc_fwd_len2401_factors_7_7_7_7_wgs_49_tpt_49_halfLds_dp_ip_CI_unitstride_sbrr_dirReg: ; @fft_rtc_fwd_len2401_factors_7_7_7_7_wgs_49_tpt_49_halfLds_dp_ip_CI_unitstride_sbrr_dirReg
; %bb.0:
	s_clause 0x2
	s_load_b128 s[4:7], s[0:1], 0x0
	s_load_b64 s[8:9], s[0:1], 0x50
	s_load_b64 s[10:11], s[0:1], 0x18
	v_mul_u32_u24_e32 v1, 0x53a, v0
	v_mov_b32_e32 v3, 0
	s_delay_alu instid0(VALU_DEP_2) | instskip(NEXT) | instid1(VALU_DEP_1)
	v_lshrrev_b32_e32 v1, 16, v1
	v_add_nc_u32_e32 v5, ttmp9, v1
	v_mov_b32_e32 v1, 0
	v_mov_b32_e32 v2, 0
	;; [unrolled: 1-line block ×3, first 2 shown]
	s_wait_kmcnt 0x0
	v_cmp_lt_u64_e64 s2, s[6:7], 2
	s_delay_alu instid0(VALU_DEP_1)
	s_and_b32 vcc_lo, exec_lo, s2
	s_cbranch_vccnz .LBB0_8
; %bb.1:
	s_load_b64 s[2:3], s[0:1], 0x10
	v_mov_b32_e32 v1, 0
	v_mov_b32_e32 v2, 0
	s_add_nc_u64 s[12:13], s[10:11], 8
	s_mov_b64 s[14:15], 1
	s_wait_kmcnt 0x0
	s_add_nc_u64 s[16:17], s[2:3], 8
	s_mov_b32 s3, 0
.LBB0_2:                                ; =>This Inner Loop Header: Depth=1
	s_load_b64 s[18:19], s[16:17], 0x0
                                        ; implicit-def: $vgpr7_vgpr8
	s_mov_b32 s2, exec_lo
	s_wait_kmcnt 0x0
	v_or_b32_e32 v4, s19, v6
	s_delay_alu instid0(VALU_DEP_1)
	v_cmpx_ne_u64_e32 0, v[3:4]
	s_wait_alu 0xfffe
	s_xor_b32 s20, exec_lo, s2
	s_cbranch_execz .LBB0_4
; %bb.3:                                ;   in Loop: Header=BB0_2 Depth=1
	s_cvt_f32_u32 s2, s18
	s_cvt_f32_u32 s21, s19
	s_sub_nc_u64 s[24:25], 0, s[18:19]
	s_wait_alu 0xfffe
	s_delay_alu instid0(SALU_CYCLE_1) | instskip(SKIP_1) | instid1(SALU_CYCLE_2)
	s_fmamk_f32 s2, s21, 0x4f800000, s2
	s_wait_alu 0xfffe
	v_s_rcp_f32 s2, s2
	s_delay_alu instid0(TRANS32_DEP_1) | instskip(SKIP_1) | instid1(SALU_CYCLE_2)
	s_mul_f32 s2, s2, 0x5f7ffffc
	s_wait_alu 0xfffe
	s_mul_f32 s21, s2, 0x2f800000
	s_wait_alu 0xfffe
	s_delay_alu instid0(SALU_CYCLE_2) | instskip(SKIP_1) | instid1(SALU_CYCLE_2)
	s_trunc_f32 s21, s21
	s_wait_alu 0xfffe
	s_fmamk_f32 s2, s21, 0xcf800000, s2
	s_cvt_u32_f32 s23, s21
	s_wait_alu 0xfffe
	s_delay_alu instid0(SALU_CYCLE_1) | instskip(SKIP_1) | instid1(SALU_CYCLE_2)
	s_cvt_u32_f32 s22, s2
	s_wait_alu 0xfffe
	s_mul_u64 s[26:27], s[24:25], s[22:23]
	s_wait_alu 0xfffe
	s_mul_hi_u32 s29, s22, s27
	s_mul_i32 s28, s22, s27
	s_mul_hi_u32 s2, s22, s26
	s_mul_i32 s30, s23, s26
	s_wait_alu 0xfffe
	s_add_nc_u64 s[28:29], s[2:3], s[28:29]
	s_mul_hi_u32 s21, s23, s26
	s_mul_hi_u32 s31, s23, s27
	s_add_co_u32 s2, s28, s30
	s_wait_alu 0xfffe
	s_add_co_ci_u32 s2, s29, s21
	s_mul_i32 s26, s23, s27
	s_add_co_ci_u32 s27, s31, 0
	s_wait_alu 0xfffe
	s_add_nc_u64 s[26:27], s[2:3], s[26:27]
	s_wait_alu 0xfffe
	v_add_co_u32 v4, s2, s22, s26
	s_delay_alu instid0(VALU_DEP_1) | instskip(SKIP_1) | instid1(VALU_DEP_1)
	s_cmp_lg_u32 s2, 0
	s_add_co_ci_u32 s23, s23, s27
	v_readfirstlane_b32 s22, v4
	s_wait_alu 0xfffe
	s_delay_alu instid0(VALU_DEP_1)
	s_mul_u64 s[24:25], s[24:25], s[22:23]
	s_wait_alu 0xfffe
	s_mul_hi_u32 s27, s22, s25
	s_mul_i32 s26, s22, s25
	s_mul_hi_u32 s2, s22, s24
	s_mul_i32 s28, s23, s24
	s_wait_alu 0xfffe
	s_add_nc_u64 s[26:27], s[2:3], s[26:27]
	s_mul_hi_u32 s21, s23, s24
	s_mul_hi_u32 s22, s23, s25
	s_wait_alu 0xfffe
	s_add_co_u32 s2, s26, s28
	s_add_co_ci_u32 s2, s27, s21
	s_mul_i32 s24, s23, s25
	s_add_co_ci_u32 s25, s22, 0
	s_wait_alu 0xfffe
	s_add_nc_u64 s[24:25], s[2:3], s[24:25]
	s_wait_alu 0xfffe
	v_add_co_u32 v4, s2, v4, s24
	s_delay_alu instid0(VALU_DEP_1) | instskip(SKIP_1) | instid1(VALU_DEP_1)
	s_cmp_lg_u32 s2, 0
	s_add_co_ci_u32 s2, s23, s25
	v_mul_hi_u32 v13, v5, v4
	s_wait_alu 0xfffe
	v_mad_co_u64_u32 v[7:8], null, v5, s2, 0
	v_mad_co_u64_u32 v[9:10], null, v6, v4, 0
	;; [unrolled: 1-line block ×3, first 2 shown]
	s_delay_alu instid0(VALU_DEP_3) | instskip(SKIP_1) | instid1(VALU_DEP_4)
	v_add_co_u32 v4, vcc_lo, v13, v7
	s_wait_alu 0xfffd
	v_add_co_ci_u32_e32 v7, vcc_lo, 0, v8, vcc_lo
	s_delay_alu instid0(VALU_DEP_2) | instskip(SKIP_1) | instid1(VALU_DEP_2)
	v_add_co_u32 v4, vcc_lo, v4, v9
	s_wait_alu 0xfffd
	v_add_co_ci_u32_e32 v4, vcc_lo, v7, v10, vcc_lo
	s_wait_alu 0xfffd
	v_add_co_ci_u32_e32 v7, vcc_lo, 0, v12, vcc_lo
	s_delay_alu instid0(VALU_DEP_2) | instskip(SKIP_1) | instid1(VALU_DEP_2)
	v_add_co_u32 v4, vcc_lo, v4, v11
	s_wait_alu 0xfffd
	v_add_co_ci_u32_e32 v9, vcc_lo, 0, v7, vcc_lo
	s_delay_alu instid0(VALU_DEP_2) | instskip(SKIP_1) | instid1(VALU_DEP_3)
	v_mul_lo_u32 v10, s19, v4
	v_mad_co_u64_u32 v[7:8], null, s18, v4, 0
	v_mul_lo_u32 v11, s18, v9
	s_delay_alu instid0(VALU_DEP_2) | instskip(NEXT) | instid1(VALU_DEP_2)
	v_sub_co_u32 v7, vcc_lo, v5, v7
	v_add3_u32 v8, v8, v11, v10
	s_delay_alu instid0(VALU_DEP_1) | instskip(SKIP_1) | instid1(VALU_DEP_1)
	v_sub_nc_u32_e32 v10, v6, v8
	s_wait_alu 0xfffd
	v_subrev_co_ci_u32_e64 v10, s2, s19, v10, vcc_lo
	v_add_co_u32 v11, s2, v4, 2
	s_wait_alu 0xf1ff
	v_add_co_ci_u32_e64 v12, s2, 0, v9, s2
	v_sub_co_u32 v13, s2, v7, s18
	v_sub_co_ci_u32_e32 v8, vcc_lo, v6, v8, vcc_lo
	s_wait_alu 0xf1ff
	v_subrev_co_ci_u32_e64 v10, s2, 0, v10, s2
	s_delay_alu instid0(VALU_DEP_3) | instskip(NEXT) | instid1(VALU_DEP_3)
	v_cmp_le_u32_e32 vcc_lo, s18, v13
	v_cmp_eq_u32_e64 s2, s19, v8
	s_wait_alu 0xfffd
	v_cndmask_b32_e64 v13, 0, -1, vcc_lo
	v_cmp_le_u32_e32 vcc_lo, s19, v10
	s_wait_alu 0xfffd
	v_cndmask_b32_e64 v14, 0, -1, vcc_lo
	v_cmp_le_u32_e32 vcc_lo, s18, v7
	;; [unrolled: 3-line block ×3, first 2 shown]
	s_wait_alu 0xfffd
	v_cndmask_b32_e64 v15, 0, -1, vcc_lo
	v_cmp_eq_u32_e32 vcc_lo, s19, v10
	s_wait_alu 0xf1ff
	s_delay_alu instid0(VALU_DEP_2)
	v_cndmask_b32_e64 v7, v15, v7, s2
	s_wait_alu 0xfffd
	v_cndmask_b32_e32 v10, v14, v13, vcc_lo
	v_add_co_u32 v13, vcc_lo, v4, 1
	s_wait_alu 0xfffd
	v_add_co_ci_u32_e32 v14, vcc_lo, 0, v9, vcc_lo
	s_delay_alu instid0(VALU_DEP_3) | instskip(SKIP_2) | instid1(VALU_DEP_3)
	v_cmp_ne_u32_e32 vcc_lo, 0, v10
	s_wait_alu 0xfffd
	v_cndmask_b32_e32 v10, v13, v11, vcc_lo
	v_cndmask_b32_e32 v8, v14, v12, vcc_lo
	v_cmp_ne_u32_e32 vcc_lo, 0, v7
	s_wait_alu 0xfffd
	s_delay_alu instid0(VALU_DEP_2)
	v_dual_cndmask_b32 v7, v4, v10 :: v_dual_cndmask_b32 v8, v9, v8
.LBB0_4:                                ;   in Loop: Header=BB0_2 Depth=1
	s_wait_alu 0xfffe
	s_and_not1_saveexec_b32 s2, s20
	s_cbranch_execz .LBB0_6
; %bb.5:                                ;   in Loop: Header=BB0_2 Depth=1
	v_cvt_f32_u32_e32 v4, s18
	s_sub_co_i32 s20, 0, s18
	s_delay_alu instid0(VALU_DEP_1) | instskip(NEXT) | instid1(TRANS32_DEP_1)
	v_rcp_iflag_f32_e32 v4, v4
	v_mul_f32_e32 v4, 0x4f7ffffe, v4
	s_delay_alu instid0(VALU_DEP_1) | instskip(SKIP_1) | instid1(VALU_DEP_1)
	v_cvt_u32_f32_e32 v4, v4
	s_wait_alu 0xfffe
	v_mul_lo_u32 v7, s20, v4
	s_delay_alu instid0(VALU_DEP_1) | instskip(NEXT) | instid1(VALU_DEP_1)
	v_mul_hi_u32 v7, v4, v7
	v_add_nc_u32_e32 v4, v4, v7
	s_delay_alu instid0(VALU_DEP_1) | instskip(NEXT) | instid1(VALU_DEP_1)
	v_mul_hi_u32 v4, v5, v4
	v_mul_lo_u32 v7, v4, s18
	v_add_nc_u32_e32 v8, 1, v4
	s_delay_alu instid0(VALU_DEP_2) | instskip(NEXT) | instid1(VALU_DEP_1)
	v_sub_nc_u32_e32 v7, v5, v7
	v_subrev_nc_u32_e32 v9, s18, v7
	v_cmp_le_u32_e32 vcc_lo, s18, v7
	s_wait_alu 0xfffd
	s_delay_alu instid0(VALU_DEP_2) | instskip(NEXT) | instid1(VALU_DEP_1)
	v_dual_cndmask_b32 v7, v7, v9 :: v_dual_cndmask_b32 v4, v4, v8
	v_cmp_le_u32_e32 vcc_lo, s18, v7
	s_delay_alu instid0(VALU_DEP_2) | instskip(SKIP_1) | instid1(VALU_DEP_1)
	v_add_nc_u32_e32 v8, 1, v4
	s_wait_alu 0xfffd
	v_dual_cndmask_b32 v7, v4, v8 :: v_dual_mov_b32 v8, v3
.LBB0_6:                                ;   in Loop: Header=BB0_2 Depth=1
	s_wait_alu 0xfffe
	s_or_b32 exec_lo, exec_lo, s2
	s_load_b64 s[20:21], s[12:13], 0x0
	s_delay_alu instid0(VALU_DEP_1)
	v_mul_lo_u32 v4, v8, s18
	v_mul_lo_u32 v11, v7, s19
	v_mad_co_u64_u32 v[9:10], null, v7, s18, 0
	s_add_nc_u64 s[14:15], s[14:15], 1
	s_add_nc_u64 s[12:13], s[12:13], 8
	s_wait_alu 0xfffe
	v_cmp_ge_u64_e64 s2, s[14:15], s[6:7]
	s_add_nc_u64 s[16:17], s[16:17], 8
	s_delay_alu instid0(VALU_DEP_2) | instskip(NEXT) | instid1(VALU_DEP_3)
	v_add3_u32 v4, v10, v11, v4
	v_sub_co_u32 v5, vcc_lo, v5, v9
	s_wait_alu 0xfffd
	s_delay_alu instid0(VALU_DEP_2) | instskip(SKIP_3) | instid1(VALU_DEP_2)
	v_sub_co_ci_u32_e32 v4, vcc_lo, v6, v4, vcc_lo
	s_and_b32 vcc_lo, exec_lo, s2
	s_wait_kmcnt 0x0
	v_mul_lo_u32 v6, s21, v5
	v_mul_lo_u32 v4, s20, v4
	v_mad_co_u64_u32 v[1:2], null, s20, v5, v[1:2]
	s_delay_alu instid0(VALU_DEP_1)
	v_add3_u32 v2, v6, v2, v4
	s_wait_alu 0xfffe
	s_cbranch_vccnz .LBB0_9
; %bb.7:                                ;   in Loop: Header=BB0_2 Depth=1
	v_dual_mov_b32 v5, v7 :: v_dual_mov_b32 v6, v8
	s_branch .LBB0_2
.LBB0_8:
	v_dual_mov_b32 v8, v6 :: v_dual_mov_b32 v7, v5
.LBB0_9:
	s_lshl_b64 s[2:3], s[6:7], 3
	v_mul_hi_u32 v5, 0x539782a, v0
	s_wait_alu 0xfffe
	s_add_nc_u64 s[2:3], s[10:11], s[2:3]
                                        ; implicit-def: $vgpr58_vgpr59
                                        ; implicit-def: $vgpr50_vgpr51
                                        ; implicit-def: $vgpr46_vgpr47
                                        ; implicit-def: $vgpr42_vgpr43
                                        ; implicit-def: $vgpr38_vgpr39
                                        ; implicit-def: $vgpr34_vgpr35
                                        ; implicit-def: $vgpr12_vgpr13
                                        ; implicit-def: $vgpr70_vgpr71
                                        ; implicit-def: $vgpr98_vgpr99
                                        ; implicit-def: $vgpr62_vgpr63
                                        ; implicit-def: $vgpr86_vgpr87
                                        ; implicit-def: $vgpr54_vgpr55
                                        ; implicit-def: $vgpr78_vgpr79
                                        ; implicit-def: $vgpr249_vgpr250
                                        ; implicit-def: $vgpr126_vgpr127
                                        ; implicit-def: $vgpr82_vgpr83
                                        ; implicit-def: $vgpr110_vgpr111
                                        ; implicit-def: $vgpr74_vgpr75
                                        ; implicit-def: $vgpr102_vgpr103
                                        ; implicit-def: $vgpr66_vgpr67
                                        ; implicit-def: $vgpr26_vgpr27
                                        ; implicit-def: $vgpr114_vgpr115
                                        ; implicit-def: $vgpr142_vgpr143
                                        ; implicit-def: $vgpr94_vgpr95
                                        ; implicit-def: $vgpr130_vgpr131
                                        ; implicit-def: $vgpr90_vgpr91
                                        ; implicit-def: $vgpr122_vgpr123
                                        ; implicit-def: $vgpr16_vgpr17
                                        ; implicit-def: $vgpr166_vgpr167
                                        ; implicit-def: $vgpr134_vgpr135
                                        ; implicit-def: $vgpr154_vgpr155
                                        ; implicit-def: $vgpr118_vgpr119
                                        ; implicit-def: $vgpr150_vgpr151
                                        ; implicit-def: $vgpr106_vgpr107
                                        ; implicit-def: $vgpr20_vgpr21
                                        ; implicit-def: $vgpr158_vgpr159
                                        ; implicit-def: $vgpr174_vgpr175
                                        ; implicit-def: $vgpr146_vgpr147
                                        ; implicit-def: $vgpr170_vgpr171
                                        ; implicit-def: $vgpr138_vgpr139
                                        ; implicit-def: $vgpr162_vgpr163
                                        ; implicit-def: $vgpr30_vgpr31
                                        ; implicit-def: $vgpr186_vgpr187
                                        ; implicit-def: $vgpr198_vgpr199
                                        ; implicit-def: $vgpr182_vgpr183
                                        ; implicit-def: $vgpr194_vgpr195
                                        ; implicit-def: $vgpr178_vgpr179
                                        ; implicit-def: $vgpr190_vgpr191
	s_load_b64 s[2:3], s[2:3], 0x0
	s_load_b64 s[0:1], s[0:1], 0x20
	s_wait_kmcnt 0x0
	v_mul_lo_u32 v3, s2, v8
	v_mul_lo_u32 v4, s3, v7
	v_mad_co_u64_u32 v[1:2], null, s2, v7, v[1:2]
	v_cmp_gt_u64_e32 vcc_lo, s[0:1], v[7:8]
	s_delay_alu instid0(VALU_DEP_2) | instskip(SKIP_1) | instid1(VALU_DEP_2)
	v_add3_u32 v2, v4, v2, v3
	v_mul_u32_u24_e32 v3, 49, v5
	v_lshlrev_b64_e32 v[1:2], 4, v[1:2]
	s_delay_alu instid0(VALU_DEP_2)
	v_sub_nc_u32_e32 v253, v0, v3
	s_clause 0x1
	scratch_store_b64 off, v[1:2], off offset:24
	; meta instruction
	scratch_store_b128 off, v[0:3], off
	s_and_saveexec_b32 s1, vcc_lo
	s_cbranch_execz .LBB0_11
; %bb.10:
	scratch_load_b64 v[2:3], off, off offset:24 ; 8-byte Folded Reload
	v_mov_b32_e32 v254, 0
	s_delay_alu instid0(VALU_DEP_1) | instskip(SKIP_4) | instid1(VALU_DEP_2)
	v_lshlrev_b64_e32 v[0:1], 4, v[253:254]
	s_wait_loadcnt 0x0
	v_add_co_u32 v2, s0, s8, v2
	s_wait_alu 0xf1ff
	v_add_co_ci_u32_e64 v3, s0, s9, v3, s0
	v_add_co_u32 v8, s0, v2, v0
	s_wait_alu 0xf1ff
	s_delay_alu instid0(VALU_DEP_2)
	v_add_co_ci_u32_e64 v9, s0, v3, v1, s0
	global_load_b128 v[0:3], v[8:9], off
	s_wait_loadcnt 0x0
	scratch_store_b128 off, v[0:3], off     ; 16-byte Folded Spill
	s_clause 0x1f
	global_load_b128 v[28:31], v[8:9], off offset:784
	global_load_b128 v[176:179], v[8:9], off offset:10976
	;; [unrolled: 1-line block ×32, first 2 shown]
	s_clause 0xf
	global_load_b128 v[60:63], v[8:9], off offset:25872
	global_load_b128 v[124:127], v[8:9], off offset:36064
	;; [unrolled: 1-line block ×16, first 2 shown]
.LBB0_11:
	s_wait_alu 0xfffe
	s_or_b32 exec_lo, exec_lo, s1
	s_wait_loadcnt 0x4
	v_add_f64_e32 v[202:203], v[198:199], v[178:179]
	v_add_f64_e64 v[198:199], v[178:179], -v[198:199]
	v_add_f64_e32 v[229:230], v[92:93], v[128:129]
	v_add_f64_e64 v[128:129], v[92:93], -v[128:129]
	v_add_f64_e32 v[92:93], v[124:125], v[64:65]
	v_add_f64_e32 v[251:252], v[126:127], v[66:67]
	v_add_f64_e64 v[178:179], v[64:65], -v[124:125]
	v_add_f64_e64 v[64:65], v[66:67], -v[126:127]
	scratch_load_b128 v[124:127], off, off th:TH_LOAD_LU ; 16-byte Folded Reload
	v_add_f64_e32 v[200:201], v[184:185], v[188:189]
	v_add_f64_e32 v[0:1], v[186:187], v[190:191]
	v_add_f64_e64 v[207:208], v[190:191], -v[186:187]
	v_add_f64_e32 v[205:206], v[196:197], v[176:177]
	v_add_f64_e64 v[231:232], v[182:183], -v[194:195]
	v_add_f64_e64 v[233:234], v[176:177], -v[196:197]
	v_add_f64_e32 v[196:197], v[180:181], v[192:193]
	v_add_f64_e32 v[209:210], v[156:157], v[160:161]
	v_add_f64_e64 v[8:9], v[160:161], -v[156:157]
	v_add_f64_e64 v[211:212], v[138:139], -v[174:175]
	v_add_f64_e32 v[217:218], v[144:145], v[168:169]
	v_add_f64_e64 v[190:191], v[144:145], -v[168:169]
	v_add_f64_e32 v[219:220], v[164:165], v[104:105]
	v_add_f64_e32 v[235:236], v[166:167], v[106:107]
	v_add_f64_e64 v[237:238], v[104:105], -v[164:165]
	v_add_f64_e64 v[104:105], v[106:107], -v[166:167]
	v_add_f64_e32 v[106:107], v[132:133], v[148:149]
	v_add_f64_e32 v[144:145], v[134:135], v[150:151]
	v_add_f64_e64 v[2:3], v[148:149], -v[132:133]
	v_add_f64_e64 v[221:222], v[150:151], -v[134:135]
	v_add_f64_e32 v[134:135], v[154:155], v[118:119]
	v_add_f64_e64 v[227:228], v[154:155], -v[118:119]
	v_add_f64_e32 v[223:224], v[112:113], v[120:121]
	;; [unrolled: 10-line block ×3, first 2 shown]
	v_add_f64_e32 v[241:242], v[82:83], v[102:103]
	v_add_f64_e64 v[142:143], v[100:101], -v[80:81]
	v_add_f64_e64 v[80:81], v[102:103], -v[82:83]
	v_add_f64_e32 v[82:83], v[108:109], v[72:73]
	v_add_f64_e32 v[6:7], v[110:111], v[74:75]
	v_add_f64_e64 v[150:151], v[108:109], -v[72:73]
	scratch_store_b64 off, v[0:1], off offset:32 ; 8-byte Folded Spill
	v_add_f64_e64 v[0:1], v[188:189], -v[184:185]
	v_add_f64_e32 v[184:185], v[182:183], v[194:195]
	v_add_f64_e32 v[182:183], v[174:175], v[138:139]
	v_add_f64_e64 v[72:73], v[110:111], -v[74:75]
	v_add_f64_e32 v[74:75], v[68:69], v[76:77]
	v_add_f64_e32 v[154:155], v[70:71], v[78:79]
	v_add_f64_e64 v[148:149], v[76:77], -v[68:69]
	v_add_f64_e64 v[68:69], v[78:79], -v[70:71]
	s_wait_loadcnt 0x3
	v_add_f64_e32 v[76:77], v[96:97], v[52:53]
	v_add_f64_e32 v[160:161], v[98:99], v[54:55]
	v_add_f64_e64 v[245:246], v[52:53], -v[96:97]
	v_add_f64_e64 v[70:71], v[54:55], -v[98:99]
	s_wait_loadcnt 0x1
	v_add_f64_e32 v[52:53], v[56:57], v[32:33]
	v_add_f64_e32 v[166:167], v[58:59], v[34:35]
	v_add_f64_e64 v[164:165], v[32:33], -v[56:57]
	v_add_f64_e64 v[32:33], v[34:35], -v[58:59]
	v_add_f64_e32 v[54:55], v[48:49], v[36:37]
	v_add_f64_e32 v[130:131], v[50:51], v[38:39]
	v_add_f64_e64 v[188:189], v[36:37], -v[48:49]
	v_add_f64_e64 v[34:35], v[38:39], -v[50:51]
	v_add_f64_e32 v[174:175], v[46:47], v[42:43]
	v_add_f64_e64 v[38:39], v[46:47], -v[42:43]
	v_add_f64_e64 v[42:43], v[231:232], -v[198:199]
	;; [unrolled: 1-line block ×3, first 2 shown]
	v_add_f64_e32 v[48:49], v[205:206], v[200:201]
	s_mov_b32 s20, 0xe976ee23
	s_mov_b32 s6, 0x429ad128
	;; [unrolled: 1-line block ×4, first 2 shown]
	v_add_f64_e64 v[239:240], v[180:181], -v[192:193]
	v_add_f64_e32 v[22:23], v[158:159], v[162:163]
	v_add_f64_e64 v[194:195], v[162:163], -v[158:159]
	v_add_f64_e32 v[213:214], v[172:173], v[136:137]
	;; [unrolled: 2-line block ×3, first 2 shown]
	v_add_f64_e32 v[162:163], v[62:63], v[86:87]
	v_add_f64_e64 v[158:159], v[60:61], -v[84:85]
	v_add_f64_e64 v[60:61], v[62:63], -v[86:87]
	v_add_f64_e32 v[36:37], v[44:45], v[40:41]
	v_add_f64_e64 v[172:173], v[44:45], -v[40:41]
	v_add_f64_e32 v[40:41], v[231:232], v[198:199]
	v_add_f64_e64 v[44:45], v[207:208], -v[231:232]
	v_add_f64_e64 v[50:51], v[200:201], -v[196:197]
	;; [unrolled: 1-line block ×3, first 2 shown]
	s_mov_b32 s10, 0xb247c609
	s_mov_b32 s16, 0x37e14327
	;; [unrolled: 1-line block ×8, first 2 shown]
	scratch_store_b64 off, v[0:1], off offset:16 ; 8-byte Folded Spill
	v_add_f64_e64 v[58:59], v[205:206], -v[200:201]
	s_mov_b32 s0, 0x37c3f68c
	s_mov_b32 s18, 0xaaaaaaaa
	;; [unrolled: 1-line block ×6, first 2 shown]
	s_wait_alu 0xfffe
	v_mul_f64_e32 v[42:43], s[20:21], v[42:43]
	v_mul_f64_e32 v[62:63], s[6:7], v[46:47]
	v_add_f64_e32 v[48:49], v[196:197], v[48:49]
	s_mov_b32 s13, 0xbfe77f67
	s_mov_b32 s12, s14
	v_add_f64_e64 v[215:216], v[146:147], -v[170:171]
	v_mad_u32_u24 v136, v253, 56, 0
	v_add_f64_e32 v[225:226], v[152:153], v[116:117]
	v_lshl_add_u32 v255, v253, 3, 0
	v_add_f64_e64 v[94:95], v[211:212], -v[194:195]
	v_add_f64_e64 v[116:117], v[152:153], -v[116:117]
	v_add_nc_u32_e32 v138, 0xab8, v136
	v_add_nc_u32_e32 v137, 0xac8, v136
	;; [unrolled: 1-line block ×7, first 2 shown]
	v_add_f64_e32 v[40:41], v[40:41], v[207:208]
	v_add_nc_u32_e32 v133, 0x3800, v255
	v_mul_f64_e32 v[50:51], s[16:17], v[50:51]
	v_add_nc_u32_e32 v201, 0x2ae0, v136
	v_add_nc_u32_e32 v207, 0x2af0, v136
	;; [unrolled: 1-line block ×6, first 2 shown]
	v_add_f64_e32 v[192:193], v[146:147], v[170:171]
	v_add_nc_u32_e32 v199, 0x4000, v255
	v_add_nc_u32_e32 v146, 0x2000, v255
	;; [unrolled: 1-line block ×3, first 2 shown]
	v_fma_f64 v[46:47], v[46:47], s[6:7], -v[42:43]
	v_fma_f64 v[42:43], v[44:45], s[10:11], v[42:43]
	v_fma_f64 v[44:45], v[44:45], s[2:3], -v[62:63]
	v_mul_f64_e32 v[62:63], s[22:23], v[56:57]
	v_add_f64_e64 v[86:87], v[215:216], -v[211:212]
	v_add_f64_e64 v[96:97], v[194:195], -v[215:216]
	v_add_f64_e32 v[84:85], v[215:216], v[211:212]
	v_mul_f64_e32 v[98:99], s[6:7], v[94:95]
	v_fma_f64 v[56:57], v[56:57], s[22:23], v[50:51]
	v_fma_f64 v[50:51], v[58:59], s[12:13], -v[50:51]
	v_fma_f64 v[46:47], v[40:41], s[0:1], v[46:47]
	v_fma_f64 v[42:43], v[40:41], s[0:1], v[42:43]
	;; [unrolled: 1-line block ×3, first 2 shown]
	v_fma_f64 v[62:63], v[58:59], s[14:15], -v[62:63]
	v_mul_f64_e32 v[86:87], s[20:21], v[86:87]
	v_add_f64_e32 v[84:85], v[84:85], v[194:195]
	v_dual_mov_b32 v194, v133 :: v_dual_add_nc_u32 v197, 0x35c0, v136
	s_delay_alu instid0(VALU_DEP_3) | instskip(SKIP_4) | instid1(VALU_DEP_1)
	v_fma_f64 v[94:95], v[94:95], s[6:7], -v[86:87]
	v_fma_f64 v[86:87], v[96:97], s[10:11], v[86:87]
	v_fma_f64 v[96:97], v[96:97], s[2:3], -v[98:99]
	s_wait_loadcnt 0x0
	v_add_f64_e32 v[0:1], v[124:125], v[48:49]
	v_fma_f64 v[44:45], v[48:49], s[18:19], v[0:1]
	s_delay_alu instid0(VALU_DEP_1) | instskip(SKIP_2) | instid1(VALU_DEP_3)
	v_add_f64_e32 v[48:49], v[56:57], v[44:45]
	v_add_f64_e32 v[56:57], v[62:63], v[44:45]
	;; [unrolled: 1-line block ×4, first 2 shown]
	s_delay_alu instid0(VALU_DEP_3) | instskip(NEXT) | instid1(VALU_DEP_3)
	v_add_f64_e64 v[58:59], v[56:57], -v[46:47]
	v_add_f64_e32 v[62:63], v[40:41], v[44:45]
	ds_store_2addr_b64 v136, v[0:1], v[50:51] offset1:1
	ds_store_2addr_b64 v136, v[62:63], v[58:59] offset0:2 offset1:3
	v_add_f64_e32 v[0:1], v[213:214], v[209:210]
	v_add_f64_e64 v[50:51], v[209:210], -v[217:218]
	v_add_f64_e64 v[62:63], v[217:218], -v[213:214]
	v_add_f64_e64 v[58:59], v[213:214], -v[209:210]
	v_add_nc_u32_e32 v209, 0x4078, v136
	v_add_f64_e32 v[0:1], v[217:218], v[0:1]
	v_mul_f64_e32 v[50:51], s[16:17], v[50:51]
	v_mul_f64_e32 v[98:99], s[22:23], v[62:63]
	s_delay_alu instid0(VALU_DEP_3) | instskip(NEXT) | instid1(VALU_DEP_3)
	v_add_f64_e32 v[28:29], v[28:29], v[0:1]
	v_fma_f64 v[62:63], v[62:63], s[22:23], v[50:51]
	s_delay_alu instid0(VALU_DEP_3)
	v_fma_f64 v[98:99], v[58:59], s[14:15], -v[98:99]
	v_fma_f64 v[50:51], v[58:59], s[12:13], -v[50:51]
	v_fma_f64 v[58:59], v[84:85], s[0:1], v[86:87]
	v_fma_f64 v[86:87], v[84:85], s[0:1], v[94:95]
	;; [unrolled: 1-line block ×4, first 2 shown]
	s_delay_alu instid0(VALU_DEP_1) | instskip(SKIP_2) | instid1(VALU_DEP_3)
	v_add_f64_e32 v[62:63], v[62:63], v[0:1]
	v_add_f64_e32 v[94:95], v[98:99], v[0:1]
	;; [unrolled: 1-line block ×4, first 2 shown]
	s_delay_alu instid0(VALU_DEP_3) | instskip(NEXT) | instid1(VALU_DEP_3)
	v_add_f64_e64 v[96:97], v[94:95], -v[86:87]
	v_add_f64_e32 v[98:99], v[84:85], v[0:1]
	v_add_f64_e64 v[0:1], v[0:1], -v[84:85]
	v_add_f64_e64 v[84:85], v[219:220], -v[225:226]
	ds_store_2addr_b64 v138, v[28:29], v[50:51] offset1:1
	ds_store_2addr_b64 v137, v[98:99], v[96:97] offset1:1
	v_add_f64_e32 v[28:29], v[86:87], v[94:95]
	v_add_f64_e32 v[50:51], v[106:107], v[219:220]
	v_add_f64_e64 v[94:95], v[227:228], -v[221:222]
	v_add_f64_e32 v[96:97], v[227:228], v[221:222]
	v_add_f64_e64 v[98:99], v[104:105], -v[227:228]
	v_add_f64_e64 v[86:87], v[225:226], -v[106:107]
	v_mul_f64_e32 v[84:85], s[16:17], v[84:85]
	v_add_f64_e32 v[50:51], v[225:226], v[50:51]
	v_mul_f64_e32 v[94:95], s[20:21], v[94:95]
	v_add_f64_e32 v[96:97], v[96:97], v[104:105]
	s_delay_alu instid0(VALU_DEP_3) | instskip(NEXT) | instid1(VALU_DEP_3)
	v_add_f64_e32 v[100:101], v[18:19], v[50:51]
	v_fma_f64 v[18:19], v[98:99], s[10:11], v[94:95]
	s_delay_alu instid0(VALU_DEP_2) | instskip(NEXT) | instid1(VALU_DEP_2)
	v_fma_f64 v[50:51], v[50:51], s[18:19], v[100:101]
	v_fma_f64 v[102:103], v[96:97], s[0:1], v[18:19]
	;; [unrolled: 1-line block ×3, first 2 shown]
	v_mul_f64_e32 v[86:87], s[22:23], v[86:87]
	s_delay_alu instid0(VALU_DEP_2) | instskip(SKIP_2) | instid1(VALU_DEP_3)
	v_add_f64_e32 v[108:109], v[18:19], v[50:51]
	v_add_nc_u32_e32 v18, 0xad8, v136
	v_add_nc_u32_e32 v19, 0x1570, v136
	v_add_f64_e32 v[110:111], v[102:103], v[108:109]
	ds_store_2addr_b64 v18, v[28:29], v[0:1] offset1:1
	ds_store_2addr_b64 v19, v[100:101], v[110:111] offset1:1
	v_add_f64_e64 v[0:1], v[221:222], -v[104:105]
	v_add_f64_e64 v[28:29], v[106:107], -v[219:220]
	s_delay_alu instid0(VALU_DEP_2) | instskip(SKIP_1) | instid1(VALU_DEP_3)
	v_fma_f64 v[94:95], v[0:1], s[6:7], -v[94:95]
	v_mul_f64_e32 v[0:1], s[6:7], v[0:1]
	v_fma_f64 v[86:87], v[28:29], s[14:15], -v[86:87]
	v_fma_f64 v[28:29], v[28:29], s[12:13], -v[84:85]
	s_delay_alu instid0(VALU_DEP_4) | instskip(NEXT) | instid1(VALU_DEP_4)
	v_fma_f64 v[84:85], v[96:97], s[0:1], v[94:95]
	v_fma_f64 v[0:1], v[98:99], s[2:3], -v[0:1]
	s_delay_alu instid0(VALU_DEP_4) | instskip(NEXT) | instid1(VALU_DEP_4)
	v_add_f64_e32 v[86:87], v[86:87], v[50:51]
	v_add_f64_e32 v[28:29], v[28:29], v[50:51]
	v_add_f64_e64 v[94:95], v[90:91], -v[88:89]
	s_delay_alu instid0(VALU_DEP_4) | instskip(NEXT) | instid1(VALU_DEP_4)
	v_fma_f64 v[0:1], v[96:97], s[0:1], v[0:1]
	v_add_f64_e64 v[50:51], v[86:87], -v[84:85]
	v_add_f64_e32 v[84:85], v[84:85], v[86:87]
	s_delay_alu instid0(VALU_DEP_4) | instskip(NEXT) | instid1(VALU_DEP_4)
	v_mul_f64_e32 v[94:95], s[20:21], v[94:95]
	v_add_f64_e32 v[86:87], v[0:1], v[28:29]
	v_add_f64_e64 v[0:1], v[28:29], -v[0:1]
	v_add_f64_e64 v[28:29], v[223:224], -v[229:230]
	ds_store_2addr_b64 v176, v[86:87], v[50:51] offset1:1
	ds_store_2addr_b64 v139, v[84:85], v[0:1] offset1:1
	v_add_f64_e32 v[0:1], v[114:115], v[223:224]
	v_add_f64_e32 v[86:87], v[90:91], v[88:89]
	v_add_f64_e64 v[88:89], v[88:89], -v[112:113]
	v_add_f64_e64 v[84:85], v[229:230], -v[114:115]
	;; [unrolled: 1-line block ×3, first 2 shown]
	v_mul_f64_e32 v[28:29], s[16:17], v[28:29]
	v_add_f64_e64 v[50:51], v[114:115], -v[223:224]
	v_add_f64_e32 v[0:1], v[229:230], v[0:1]
	v_add_f64_e32 v[86:87], v[86:87], v[112:113]
	v_mul_f64_e32 v[96:97], s[6:7], v[88:89]
	v_fma_f64 v[88:89], v[88:89], s[6:7], -v[94:95]
	v_fma_f64 v[94:95], v[90:91], s[10:11], v[94:95]
	v_add_f64_e32 v[14:15], v[14:15], v[0:1]
	s_delay_alu instid0(VALU_DEP_4)
	v_fma_f64 v[90:91], v[90:91], s[2:3], -v[96:97]
	v_mul_f64_e32 v[96:97], s[22:23], v[84:85]
	v_fma_f64 v[84:85], v[84:85], s[22:23], v[28:29]
	v_fma_f64 v[28:29], v[50:51], s[12:13], -v[28:29]
	v_fma_f64 v[88:89], v[86:87], s[0:1], v[88:89]
	v_fma_f64 v[0:1], v[0:1], s[18:19], v[14:15]
	v_fma_f64 v[96:97], v[50:51], s[14:15], -v[96:97]
	v_fma_f64 v[50:51], v[86:87], s[0:1], v[94:95]
	v_fma_f64 v[86:87], v[86:87], s[0:1], v[90:91]
	s_delay_alu instid0(VALU_DEP_4) | instskip(NEXT) | instid1(VALU_DEP_4)
	v_add_f64_e32 v[84:85], v[84:85], v[0:1]
	v_add_f64_e32 v[90:91], v[96:97], v[0:1]
	;; [unrolled: 1-line block ×3, first 2 shown]
	s_delay_alu instid0(VALU_DEP_3) | instskip(NEXT) | instid1(VALU_DEP_3)
	v_add_f64_e32 v[28:29], v[50:51], v[84:85]
	v_add_f64_e64 v[94:95], v[90:91], -v[88:89]
	s_delay_alu instid0(VALU_DEP_3)
	v_add_f64_e32 v[96:97], v[86:87], v[0:1]
	v_add_f64_e64 v[0:1], v[0:1], -v[86:87]
	v_add_f64_e64 v[86:87], v[92:93], -v[82:83]
	ds_store_2addr_b64 v198, v[14:15], v[28:29] offset1:1
	ds_store_2addr_b64 v157, v[96:97], v[94:95] offset1:1
	v_add_f64_e32 v[28:29], v[66:67], v[92:93]
	v_add_f64_e32 v[14:15], v[88:89], v[90:91]
	v_add_f64_e64 v[90:91], v[72:73], -v[80:81]
	v_add_f64_e32 v[88:89], v[72:73], v[80:81]
	v_add_f64_e64 v[72:73], v[64:65], -v[72:73]
	v_mul_f64_e32 v[86:87], s[16:17], v[86:87]
	v_add_f64_e32 v[28:29], v[82:83], v[28:29]
	v_add_f64_e64 v[82:83], v[82:83], -v[66:67]
	v_mul_f64_e32 v[90:91], s[20:21], v[90:91]
	v_add_f64_e32 v[88:89], v[88:89], v[64:65]
	s_delay_alu instid0(VALU_DEP_4) | instskip(NEXT) | instid1(VALU_DEP_4)
	v_add_f64_e32 v[24:25], v[24:25], v[28:29]
	v_fma_f64 v[94:95], v[82:83], s[22:23], v[86:87]
	s_delay_alu instid0(VALU_DEP_4) | instskip(NEXT) | instid1(VALU_DEP_3)
	v_fma_f64 v[96:97], v[72:73], s[10:11], v[90:91]
	v_fma_f64 v[28:29], v[28:29], s[18:19], v[24:25]
	s_delay_alu instid0(VALU_DEP_2) | instskip(NEXT) | instid1(VALU_DEP_2)
	v_fma_f64 v[96:97], v[88:89], s[0:1], v[96:97]
	v_add_f64_e32 v[94:95], v[94:95], v[28:29]
	s_delay_alu instid0(VALU_DEP_1)
	v_add_f64_e32 v[98:99], v[96:97], v[94:95]
	ds_store_2addr_b64 v200, v[14:15], v[0:1] offset1:1
	ds_store_2addr_b64 v201, v[24:25], v[98:99] offset1:1
	v_add_f64_e64 v[14:15], v[80:81], -v[64:65]
	v_add_f64_e64 v[0:1], v[66:67], -v[92:93]
	v_mul_f64_e32 v[24:25], s[22:23], v[82:83]
	s_delay_alu instid0(VALU_DEP_3) | instskip(SKIP_1) | instid1(VALU_DEP_3)
	v_fma_f64 v[64:65], v[14:15], s[6:7], -v[90:91]
	v_mul_f64_e32 v[14:15], s[6:7], v[14:15]
	v_fma_f64 v[24:25], v[0:1], s[14:15], -v[24:25]
	v_fma_f64 v[0:1], v[0:1], s[12:13], -v[86:87]
	s_delay_alu instid0(VALU_DEP_3) | instskip(NEXT) | instid1(VALU_DEP_3)
	v_fma_f64 v[14:15], v[72:73], s[2:3], -v[14:15]
	v_add_f64_e32 v[24:25], v[24:25], v[28:29]
	s_delay_alu instid0(VALU_DEP_3) | instskip(SKIP_1) | instid1(VALU_DEP_4)
	v_add_f64_e32 v[0:1], v[0:1], v[28:29]
	v_fma_f64 v[28:29], v[88:89], s[0:1], v[64:65]
	v_fma_f64 v[14:15], v[88:89], s[0:1], v[14:15]
	s_delay_alu instid0(VALU_DEP_2) | instskip(SKIP_1) | instid1(VALU_DEP_3)
	v_add_f64_e64 v[64:65], v[24:25], -v[28:29]
	v_add_f64_e32 v[24:25], v[28:29], v[24:25]
	v_add_f64_e32 v[28:29], v[14:15], v[0:1]
	v_add_f64_e64 v[0:1], v[0:1], -v[14:15]
	v_add_f64_e64 v[14:15], v[44:45], -v[40:41]
	;; [unrolled: 1-line block ×4, first 2 shown]
	ds_store_2addr_b64 v207, v[28:29], v[64:65] offset1:1
	ds_store_2addr_b64 v208, v[24:25], v[0:1] offset1:1
	v_add_f64_e32 v[0:1], v[46:47], v[56:57]
	v_add_f64_e64 v[24:25], v[48:49], -v[42:43]
	v_add_f64_e64 v[28:29], v[74:75], -v[78:79]
	;; [unrolled: 1-line block ×5, first 2 shown]
	v_add_f64_e32 v[50:51], v[60:61], v[70:71]
	v_add_f64_e64 v[56:57], v[60:61], -v[70:71]
	v_add_f64_e64 v[58:59], v[68:69], -v[60:61]
	;; [unrolled: 1-line block ×3, first 2 shown]
	ds_store_2addr_b64 v136, v[0:1], v[14:15] offset0:4 offset1:5
	v_add_f64_e32 v[0:1], v[76:77], v[74:75]
	v_add_f64_e64 v[14:15], v[76:77], -v[74:75]
	ds_store_b64 v136, v[24:25] offset:48
	ds_store_b64 v136, v[42:43] offset:2792
	;; [unrolled: 1-line block ×5, first 2 shown]
	v_mul_f64_e32 v[24:25], s[16:17], v[28:29]
	v_mul_f64_e32 v[28:29], s[22:23], v[40:41]
	v_add_f64_e32 v[50:51], v[50:51], v[68:69]
	v_add_nc_u32_e32 v48, 0x1800, v255
	v_mul_f64_e32 v[42:43], s[6:7], v[60:61]
	s_delay_alu instid0(VALU_DEP_2)
	v_mov_b32_e32 v153, v48
	v_add_nc_u32_e32 v205, 0x4058, v136
	v_add_f64_e32 v[0:1], v[78:79], v[0:1]
	v_fma_f64 v[40:41], v[40:41], s[22:23], v[24:25]
	v_fma_f64 v[24:25], v[14:15], s[12:13], -v[24:25]
	v_fma_f64 v[14:15], v[14:15], s[14:15], -v[28:29]
	v_mul_f64_e32 v[28:29], s[20:21], v[56:57]
	v_fma_f64 v[42:43], v[58:59], s[2:3], -v[42:43]
	v_add_f64_e32 v[4:5], v[247:248], v[0:1]
	s_delay_alu instid0(VALU_DEP_3) | instskip(SKIP_1) | instid1(VALU_DEP_3)
	v_fma_f64 v[44:45], v[58:59], s[10:11], v[28:29]
	v_fma_f64 v[28:29], v[60:61], s[6:7], -v[28:29]
	v_fma_f64 v[0:1], v[0:1], s[18:19], v[4:5]
	ds_store_b64 v136, v[4:5] offset:13720
	v_fma_f64 v[28:29], v[50:51], s[0:1], v[28:29]
	v_add_f64_e32 v[40:41], v[40:41], v[0:1]
	v_add_f64_e32 v[24:25], v[24:25], v[0:1]
	;; [unrolled: 1-line block ×3, first 2 shown]
	v_fma_f64 v[14:15], v[50:51], s[0:1], v[42:43]
	v_fma_f64 v[42:43], v[50:51], s[0:1], v[44:45]
	v_add_f64_e32 v[44:45], v[54:55], v[52:53]
	s_delay_alu instid0(VALU_DEP_4)
	v_add_f64_e64 v[4:5], v[0:1], -v[28:29]
	v_add_f64_e32 v[0:1], v[28:29], v[0:1]
	v_add_f64_e32 v[28:29], v[14:15], v[24:25]
	;; [unrolled: 1-line block ×4, first 2 shown]
	ds_store_2addr_b64 v152, v[46:47], v[28:29] offset1:1
	ds_store_2addr_b64 v196, v[4:5], v[0:1] offset1:1
	v_add_f64_e64 v[0:1], v[24:25], -v[14:15]
	v_add_f64_e64 v[4:5], v[40:41], -v[42:43]
	v_add_f64_e32 v[10:11], v[10:11], v[44:45]
	v_add_f64_e64 v[14:15], v[36:37], -v[54:55]
	v_add_f64_e32 v[24:25], v[38:39], v[34:35]
	v_add_f64_e64 v[28:29], v[38:39], -v[34:35]
	v_add_f64_e64 v[34:35], v[34:35], -v[32:33]
	v_add_nc_u32_e32 v41, 0x2400, v255
	v_add_nc_u32_e32 v42, 0x2800, v255
	;; [unrolled: 1-line block ×4, first 2 shown]
	s_delay_alu instid0(VALU_DEP_4) | instskip(NEXT) | instid1(VALU_DEP_2)
	v_dual_mov_b32 v132, v41 :: v_dual_add_nc_u32 v243, 0x800, v255
	v_dual_mov_b32 v156, v42 :: v_dual_mov_b32 v215, v40
	s_delay_alu instid0(VALU_DEP_4)
	v_mov_b32_e32 v124, v43
	ds_store_2addr_b64 v197, v[0:1], v[4:5] offset1:1
	ds_store_b64 v136, v[10:11] offset:16464
	v_add_f64_e64 v[4:5], v[52:53], -v[36:37]
	v_add_f64_e64 v[0:1], v[54:55], -v[52:53]
	;; [unrolled: 1-line block ×3, first 2 shown]
	v_add_f64_e32 v[24:25], v[24:25], v[32:33]
	v_mul_f64_e32 v[32:33], s[22:23], v[14:15]
	v_mul_f64_e32 v[28:29], s[20:21], v[28:29]
	;; [unrolled: 1-line block ×3, first 2 shown]
	s_delay_alu instid0(VALU_DEP_1) | instskip(SKIP_3) | instid1(VALU_DEP_1)
	v_fma_f64 v[14:15], v[14:15], s[22:23], v[4:5]
	v_fma_f64 v[4:5], v[0:1], s[12:13], -v[4:5]
	v_fma_f64 v[0:1], v[0:1], s[14:15], -v[32:33]
	v_mul_f64_e32 v[32:33], s[6:7], v[34:35]
	v_fma_f64 v[32:33], v[36:37], s[2:3], -v[32:33]
	v_fma_f64 v[36:37], v[36:37], s[10:11], v[28:29]
	v_fma_f64 v[28:29], v[34:35], s[6:7], -v[28:29]
	v_fma_f64 v[34:35], v[44:45], s[18:19], v[10:11]
	s_delay_alu instid0(VALU_DEP_4) | instskip(NEXT) | instid1(VALU_DEP_3)
	v_fma_f64 v[32:33], v[24:25], s[0:1], v[32:33]
	v_fma_f64 v[28:29], v[24:25], s[0:1], v[28:29]
	s_delay_alu instid0(VALU_DEP_3) | instskip(SKIP_3) | instid1(VALU_DEP_2)
	v_add_f64_e32 v[14:15], v[14:15], v[34:35]
	v_add_f64_e32 v[4:5], v[4:5], v[34:35]
	v_add_f64_e32 v[0:1], v[0:1], v[34:35]
	v_fma_f64 v[24:25], v[24:25], s[0:1], v[36:37]
	v_add_f64_e64 v[10:11], v[0:1], -v[28:29]
	v_add_f64_e32 v[0:1], v[28:29], v[0:1]
	v_add_f64_e32 v[28:29], v[32:33], v[4:5]
	s_delay_alu instid0(VALU_DEP_4)
	v_add_f64_e32 v[34:35], v[24:25], v[14:15]
	ds_store_2addr_b64 v205, v[34:35], v[28:29] offset1:1
	ds_store_2addr_b64 v206, v[10:11], v[0:1] offset1:1
	v_add_f64_e64 v[0:1], v[4:5], -v[32:33]
	v_add_f64_e64 v[4:5], v[14:15], -v[24:25]
	;; [unrolled: 1-line block ×5, first 2 shown]
	ds_store_2addr_b64 v209, v[0:1], v[4:5] offset1:1
	v_add_f64_e32 v[0:1], v[182:183], v[22:23]
	v_add_f64_e64 v[4:5], v[22:23], -v[192:193]
	v_add_f64_e32 v[22:23], v[190:191], v[180:181]
	v_mul_f64_e32 v[32:33], s[22:23], v[10:11]
	global_wb scope:SCOPE_SE
	s_wait_storecnt_dscnt 0x0
	s_barrier_signal -1
	s_barrier_wait -1
	global_inv scope:SCOPE_SE
	v_add_f64_e32 v[0:1], v[192:193], v[0:1]
	v_mul_f64_e32 v[4:5], s[16:17], v[4:5]
	v_add_f64_e32 v[22:23], v[22:23], v[8:9]
	v_fma_f64 v[32:33], v[14:15], s[14:15], -v[32:33]
	s_delay_alu instid0(VALU_DEP_4)
	v_add_f64_e32 v[24:25], v[30:31], v[0:1]
	v_add_f64_e64 v[30:31], v[8:9], -v[190:191]
	v_add_f64_e64 v[8:9], v[180:181], -v[8:9]
	v_fma_f64 v[10:11], v[10:11], s[22:23], v[4:5]
	v_fma_f64 v[4:5], v[14:15], s[12:13], -v[4:5]
	v_mul_f64_e32 v[14:15], s[20:21], v[28:29]
	s_delay_alu instid0(VALU_DEP_4) | instskip(NEXT) | instid1(VALU_DEP_2)
	v_mul_f64_e32 v[28:29], s[6:7], v[8:9]
	v_fma_f64 v[8:9], v[8:9], s[6:7], -v[14:15]
	s_delay_alu instid0(VALU_DEP_2) | instskip(SKIP_2) | instid1(VALU_DEP_3)
	v_fma_f64 v[28:29], v[30:31], s[2:3], -v[28:29]
	v_fma_f64 v[30:31], v[30:31], s[10:11], v[14:15]
	v_fma_f64 v[14:15], v[0:1], s[18:19], v[24:25]
	;; [unrolled: 1-line block ×3, first 2 shown]
	v_add_nc_u32_e32 v29, 0x1c00, v255
	s_delay_alu instid0(VALU_DEP_3)
	v_add_f64_e32 v[0:1], v[10:11], v[14:15]
	v_add_f64_e32 v[182:183], v[4:5], v[14:15]
	v_fma_f64 v[4:5], v[22:23], s[0:1], v[30:31]
	v_add_f64_e32 v[180:181], v[32:33], v[14:15]
	v_fma_f64 v[22:23], v[22:23], s[0:1], v[8:9]
	v_add_nc_u32_e32 v28, 0x3400, v255
	ds_load_b64 v[14:15], v255 offset:18816
	ds_load_2addr_b64 v[32:35], v255 offset1:49
	ds_load_2addr_b64 v[8:11], v243 offset0:38 offset1:87
	ds_load_2addr_b64 v[112:115], v147 offset0:174 offset1:223
	ds_load_2addr_b64 v[44:47], v29 offset0:84 offset1:133
	ds_load_2addr_b64 v[108:111], v42 offset0:92 offset1:141
	ds_load_2addr_b64 v[36:39], v43 offset0:130 offset1:179
	ds_load_2addr_b64 v[104:107], v199 offset0:10 offset1:59
	ds_load_2addr_b64 v[100:103], v243 offset0:136 offset1:185
	ds_load_2addr_b64 v[96:99], v146 offset0:54 offset1:103
	ds_load_2addr_b64 v[92:95], v28 offset0:100 offset1:149
	ds_load_2addr_b64 v[168:171], v255 offset0:98 offset1:147
	ds_load_2addr_b64 v[88:91], v48 offset0:16 offset1:65
	ds_load_2addr_b64 v[84:87], v42 offset0:190 offset1:239
	ds_load_2addr_b64 v[80:83], v199 offset0:108 offset1:157
	ds_load_2addr_b64 v[76:79], v40 offset0:106 offset1:155
	ds_load_2addr_b64 v[72:75], v146 offset0:152 offset1:201
	ds_load_2addr_b64 v[68:71], v133 offset0:70 offset1:119
	ds_load_2addr_b64 v[49:52], v255 offset0:196 offset1:245
	v_dual_mov_b32 v177, v29 :: v_dual_mov_b32 v214, v28
	ds_load_2addr_b64 v[64:67], v48 offset0:114 offset1:163
	ds_load_2addr_b64 v[60:63], v43 offset0:32 offset1:81
	s_wait_dscnt 0x2
	scratch_store_b128 off, v[49:52], off offset:40 ; 16-byte Folded Spill
	ds_load_2addr_b64 v[56:59], v199 offset0:206 offset1:255
	ds_load_2addr_b64 v[52:55], v147 offset0:76 offset1:125
	;; [unrolled: 1-line block ×4, first 2 shown]
	global_wb scope:SCOPE_SE
	s_wait_storecnt_dscnt 0x0
	s_barrier_signal -1
	s_barrier_wait -1
	global_inv scope:SCOPE_SE
	v_add_f64_e64 v[210:211], v[182:183], -v[190:191]
	v_add_f64_e64 v[192:193], v[0:1], -v[4:5]
	v_add_f64_e32 v[0:1], v[4:5], v[0:1]
	v_add_f64_e32 v[212:213], v[22:23], v[180:181]
	ds_store_2addr_b64 v138, v[24:25], v[192:193] offset1:1
	ds_store_2addr_b64 v137, v[210:211], v[212:213] offset1:1
	v_add_f64_e32 v[137:138], v[144:145], v[235:236]
	v_add_f64_e64 v[22:23], v[180:181], -v[22:23]
	v_add_f64_e32 v[24:25], v[190:191], v[182:183]
	v_add_f64_e64 v[180:181], v[235:236], -v[134:135]
	v_add_f64_e64 v[190:191], v[116:117], -v[2:3]
	v_add_f64_e32 v[182:183], v[116:117], v[2:3]
	v_add_f64_e64 v[116:117], v[237:238], -v[116:117]
	v_add_f64_e32 v[137:138], v[134:135], v[137:138]
	v_add_f64_e64 v[133:134], v[134:135], -v[144:145]
	v_mul_f64_e32 v[180:181], s[16:17], v[180:181]
	v_mul_f64_e32 v[190:191], s[20:21], v[190:191]
	v_add_f64_e32 v[182:183], v[182:183], v[237:238]
	v_add_f64_e32 v[20:21], v[20:21], v[137:138]
	s_delay_alu instid0(VALU_DEP_4) | instskip(NEXT) | instid1(VALU_DEP_4)
	v_fma_f64 v[192:193], v[133:134], s[22:23], v[180:181]
	v_fma_f64 v[210:211], v[116:117], s[10:11], v[190:191]
	s_delay_alu instid0(VALU_DEP_3) | instskip(NEXT) | instid1(VALU_DEP_2)
	v_fma_f64 v[137:138], v[137:138], s[18:19], v[20:21]
	v_fma_f64 v[210:211], v[182:183], s[0:1], v[210:211]
	s_delay_alu instid0(VALU_DEP_2) | instskip(NEXT) | instid1(VALU_DEP_1)
	v_add_f64_e32 v[192:193], v[192:193], v[137:138]
	v_add_f64_e64 v[212:213], v[192:193], -v[210:211]
	ds_store_2addr_b64 v18, v[22:23], v[24:25] offset1:1
	ds_store_2addr_b64 v19, v[20:21], v[212:213] offset1:1
	v_add_f64_e64 v[20:21], v[2:3], -v[237:238]
	v_add_f64_e64 v[18:19], v[144:145], -v[235:236]
	v_mul_f64_e32 v[22:23], s[22:23], v[133:134]
	v_mov_b32_e32 v145, v214
	v_add_f64_e32 v[4:5], v[210:211], v[192:193]
	v_mov_b32_e32 v144, v132
	v_fma_f64 v[24:25], v[20:21], s[6:7], -v[190:191]
	v_mul_f64_e32 v[20:21], s[6:7], v[20:21]
	v_fma_f64 v[22:23], v[18:19], s[14:15], -v[22:23]
	v_fma_f64 v[18:19], v[18:19], s[12:13], -v[180:181]
	v_mov_b32_e32 v190, v153
	v_fma_f64 v[24:25], v[182:183], s[0:1], v[24:25]
	v_fma_f64 v[20:21], v[116:117], s[2:3], -v[20:21]
	v_add_f64_e32 v[22:23], v[22:23], v[137:138]
	v_add_f64_e32 v[18:19], v[18:19], v[137:138]
	s_delay_alu instid0(VALU_DEP_3) | instskip(NEXT) | instid1(VALU_DEP_3)
	v_fma_f64 v[20:21], v[182:183], s[0:1], v[20:21]
	v_add_f64_e32 v[116:117], v[24:25], v[22:23]
	v_add_f64_e64 v[22:23], v[22:23], -v[24:25]
	s_delay_alu instid0(VALU_DEP_3)
	v_add_f64_e64 v[24:25], v[18:19], -v[20:21]
	v_add_f64_e32 v[18:19], v[20:21], v[18:19]
	ds_store_2addr_b64 v176, v[24:25], v[116:117] offset1:1
	ds_store_2addr_b64 v139, v[22:23], v[18:19] offset1:1
	v_add_f64_e32 v[18:19], v[122:123], v[186:187]
	v_add_f64_e64 v[20:21], v[186:187], -v[140:141]
	v_add_f64_e64 v[22:23], v[140:141], -v[122:123]
	v_add_f64_e32 v[116:117], v[128:129], v[120:121]
	v_add_f64_e64 v[24:25], v[122:123], -v[186:187]
	v_add_f64_e64 v[122:123], v[128:129], -v[120:121]
	;; [unrolled: 1-line block ×3, first 2 shown]
	v_mov_b32_e32 v187, v124
	v_add_nc_u16 v176, v253, 0x62
	v_add_f64_e32 v[18:19], v[140:141], v[18:19]
	v_mul_f64_e32 v[20:21], s[16:17], v[20:21]
	v_add_f64_e32 v[116:117], v[116:117], v[118:119]
	v_add_f64_e64 v[118:119], v[120:121], -v[118:119]
	v_mul_f64_e32 v[120:121], s[22:23], v[22:23]
	v_add_f64_e32 v[16:17], v[16:17], v[18:19]
	v_fma_f64 v[22:23], v[22:23], s[22:23], v[20:21]
	v_fma_f64 v[20:21], v[24:25], s[12:13], -v[20:21]
	s_delay_alu instid0(VALU_DEP_4) | instskip(SKIP_3) | instid1(VALU_DEP_3)
	v_fma_f64 v[120:121], v[24:25], s[14:15], -v[120:121]
	v_mul_f64_e32 v[24:25], s[20:21], v[122:123]
	v_mul_f64_e32 v[122:123], s[6:7], v[118:119]
	v_fma_f64 v[18:19], v[18:19], s[18:19], v[16:17]
	v_fma_f64 v[118:119], v[118:119], s[6:7], -v[24:25]
	v_fma_f64 v[24:25], v[128:129], s[10:11], v[24:25]
	s_delay_alu instid0(VALU_DEP_4) | instskip(NEXT) | instid1(VALU_DEP_4)
	v_fma_f64 v[122:123], v[128:129], s[2:3], -v[122:123]
	v_add_f64_e32 v[22:23], v[22:23], v[18:19]
	v_add_f64_e32 v[120:121], v[120:121], v[18:19]
	;; [unrolled: 1-line block ×3, first 2 shown]
	v_fma_f64 v[20:21], v[116:117], s[0:1], v[24:25]
	v_fma_f64 v[24:25], v[116:117], s[0:1], v[118:119]
	;; [unrolled: 1-line block ×3, first 2 shown]
	s_delay_alu instid0(VALU_DEP_3) | instskip(NEXT) | instid1(VALU_DEP_3)
	v_add_f64_e64 v[118:119], v[22:23], -v[20:21]
	v_add_f64_e32 v[122:123], v[24:25], v[120:121]
	s_delay_alu instid0(VALU_DEP_3)
	v_add_f64_e64 v[128:129], v[18:19], -v[116:117]
	ds_store_2addr_b64 v198, v[16:17], v[118:119] offset1:1
	ds_store_2addr_b64 v157, v[128:129], v[122:123] offset1:1
	v_add_f64_e64 v[16:17], v[120:121], -v[24:25]
	v_add_f64_e32 v[24:25], v[241:242], v[251:252]
	v_add_f64_e32 v[18:19], v[116:117], v[18:19]
	v_add_f64_e64 v[116:117], v[251:252], -v[6:7]
	v_add_f64_e64 v[122:123], v[150:151], -v[142:143]
	;; [unrolled: 1-line block ×3, first 2 shown]
	v_add_f64_e32 v[120:121], v[150:151], v[142:143]
	v_add_f64_e64 v[128:129], v[178:179], -v[150:151]
	v_add_f64_e32 v[20:21], v[20:21], v[22:23]
	v_add_f64_e32 v[24:25], v[6:7], v[24:25]
	v_mul_f64_e32 v[116:117], s[16:17], v[116:117]
	v_mul_f64_e32 v[122:123], s[20:21], v[122:123]
	v_add_f64_e32 v[120:121], v[120:121], v[178:179]
	s_delay_alu instid0(VALU_DEP_4) | instskip(NEXT) | instid1(VALU_DEP_4)
	v_add_f64_e32 v[26:27], v[26:27], v[24:25]
	v_fma_f64 v[133:134], v[118:119], s[22:23], v[116:117]
	s_delay_alu instid0(VALU_DEP_4) | instskip(NEXT) | instid1(VALU_DEP_3)
	v_fma_f64 v[137:138], v[128:129], s[10:11], v[122:123]
	v_fma_f64 v[24:25], v[24:25], s[18:19], v[26:27]
	s_delay_alu instid0(VALU_DEP_2) | instskip(NEXT) | instid1(VALU_DEP_2)
	v_fma_f64 v[137:138], v[120:121], s[0:1], v[137:138]
	v_add_f64_e32 v[133:134], v[133:134], v[24:25]
	s_delay_alu instid0(VALU_DEP_1)
	v_add_f64_e64 v[139:140], v[133:134], -v[137:138]
	ds_store_2addr_b64 v200, v[16:17], v[18:19] offset1:1
	ds_store_2addr_b64 v201, v[26:27], v[139:140] offset1:1
	v_add_f64_e64 v[16:17], v[241:242], -v[251:252]
	v_add_f64_e64 v[18:19], v[142:143], -v[178:179]
	v_mul_f64_e32 v[26:27], s[22:23], v[118:119]
	v_add_f64_e64 v[118:119], v[239:240], -v[233:234]
	v_add_f64_e32 v[22:23], v[137:138], v[133:134]
	s_delay_alu instid0(VALU_DEP_3) | instskip(SKIP_3) | instid1(VALU_DEP_4)
	v_fma_f64 v[26:27], v[16:17], s[14:15], -v[26:27]
	v_fma_f64 v[16:17], v[16:17], s[12:13], -v[116:117]
	;; [unrolled: 1-line block ×3, first 2 shown]
	v_mul_f64_e32 v[18:19], s[6:7], v[18:19]
	v_add_f64_e32 v[26:27], v[26:27], v[24:25]
	s_delay_alu instid0(VALU_DEP_4) | instskip(NEXT) | instid1(VALU_DEP_4)
	v_add_f64_e32 v[16:17], v[16:17], v[24:25]
	v_fma_f64 v[24:25], v[120:121], s[0:1], v[116:117]
	s_delay_alu instid0(VALU_DEP_4) | instskip(NEXT) | instid1(VALU_DEP_2)
	v_fma_f64 v[18:19], v[128:129], s[2:3], -v[18:19]
	v_add_f64_e32 v[116:117], v[24:25], v[26:27]
	s_delay_alu instid0(VALU_DEP_2) | instskip(SKIP_1) | instid1(VALU_DEP_2)
	v_fma_f64 v[18:19], v[120:121], s[0:1], v[18:19]
	v_add_f64_e64 v[24:25], v[26:27], -v[24:25]
	v_add_f64_e64 v[26:27], v[16:17], -v[18:19]
	v_add_f64_e32 v[16:17], v[18:19], v[16:17]
	ds_store_2addr_b64 v207, v[26:27], v[116:117] offset1:1
	ds_store_2addr_b64 v208, v[24:25], v[16:17] offset1:1
	scratch_load_b64 v[6:7], off, off offset:32 th:TH_LOAD_LU ; 8-byte Folded Reload
	v_add_f64_e64 v[24:25], v[184:185], -v[202:203]
	v_add_f64_e32 v[116:117], v[239:240], v[233:234]
	s_delay_alu instid0(VALU_DEP_2)
	v_mul_f64_e32 v[128:129], s[22:23], v[24:25]
	s_wait_loadcnt 0x0
	v_add_f64_e32 v[16:17], v[202:203], v[6:7]
	v_add_f64_e64 v[18:19], v[6:7], -v[184:185]
	v_add_f64_e64 v[26:27], v[202:203], -v[6:7]
	scratch_load_b64 v[6:7], off, off offset:16 th:TH_LOAD_LU ; 8-byte Folded Reload
	v_dual_mov_b32 v202, v253 :: v_dual_mov_b32 v203, v215
	s_delay_alu instid0(VALU_DEP_1) | instskip(SKIP_3) | instid1(VALU_DEP_3)
	v_add_nc_u32_e32 v212, 0x126, v202
	v_add_f64_e32 v[16:17], v[184:185], v[16:17]
	v_mul_f64_e32 v[18:19], s[16:17], v[18:19]
	v_fma_f64 v[128:129], v[26:27], s[14:15], -v[128:129]
	v_add_f64_e32 v[2:3], v[126:127], v[16:17]
	s_delay_alu instid0(VALU_DEP_3) | instskip(SKIP_2) | instid1(VALU_DEP_4)
	v_fma_f64 v[24:25], v[24:25], s[22:23], v[18:19]
	v_fma_f64 v[18:19], v[26:27], s[12:13], -v[18:19]
	v_mul_f64_e32 v[26:27], s[20:21], v[118:119]
	v_fma_f64 v[16:17], v[16:17], s[18:19], v[2:3]
	s_delay_alu instid0(VALU_DEP_1) | instskip(SKIP_4) | instid1(VALU_DEP_3)
	v_add_f64_e32 v[24:25], v[24:25], v[16:17]
	s_wait_loadcnt 0x0
	v_add_f64_e64 v[122:123], v[233:234], -v[6:7]
	v_add_f64_e64 v[120:121], v[6:7], -v[239:240]
	v_add_f64_e32 v[116:117], v[116:117], v[6:7]
	v_mul_f64_e32 v[118:119], s[6:7], v[122:123]
	s_delay_alu instid0(VALU_DEP_1)
	v_fma_f64 v[118:119], v[120:121], s[2:3], -v[118:119]
	v_fma_f64 v[120:121], v[120:121], s[10:11], v[26:27]
	v_fma_f64 v[26:27], v[122:123], s[6:7], -v[26:27]
	v_add_f64_e32 v[122:123], v[128:129], v[16:17]
	v_add_f64_e32 v[16:17], v[18:19], v[16:17]
	v_fma_f64 v[118:119], v[116:117], s[0:1], v[118:119]
	v_fma_f64 v[18:19], v[116:117], s[0:1], v[120:121]
	;; [unrolled: 1-line block ×3, first 2 shown]
	s_delay_alu instid0(VALU_DEP_3) | instskip(NEXT) | instid1(VALU_DEP_3)
	v_add_f64_e64 v[120:121], v[16:17], -v[118:119]
	v_add_f64_e64 v[116:117], v[24:25], -v[18:19]
	s_delay_alu instid0(VALU_DEP_3)
	v_add_f64_e32 v[128:129], v[26:27], v[122:123]
	ds_store_2addr_b64 v136, v[2:3], v[116:117] offset1:1
	ds_store_2addr_b64 v136, v[120:121], v[128:129] offset0:2 offset1:3
	v_add_f64_e64 v[2:3], v[122:123], -v[26:27]
	v_add_f64_e32 v[16:17], v[118:119], v[16:17]
	v_add_f64_e32 v[18:19], v[18:19], v[24:25]
	v_add_f64_e64 v[24:25], v[154:155], -v[162:163]
	v_add_f64_e64 v[26:27], v[162:163], -v[160:161]
	;; [unrolled: 1-line block ×4, first 2 shown]
	v_add_f64_e32 v[116:117], v[158:159], v[245:246]
	v_add_f64_e64 v[120:121], v[148:149], -v[158:159]
	ds_store_2addr_b64 v136, v[2:3], v[16:17] offset0:4 offset1:5
	v_add_f64_e32 v[2:3], v[160:161], v[154:155]
	v_add_f64_e64 v[16:17], v[160:161], -v[154:155]
	ds_store_b64 v136, v[18:19] offset:48
	ds_store_b64 v136, v[0:1] offset:2792
	;; [unrolled: 1-line block ×5, first 2 shown]
	v_mul_f64_e32 v[0:1], s[16:17], v[24:25]
	v_mul_f64_e32 v[4:5], s[22:23], v[26:27]
	;; [unrolled: 1-line block ×3, first 2 shown]
	v_add_f64_e32 v[116:117], v[116:117], v[148:149]
	v_add_f64_e32 v[2:3], v[162:163], v[2:3]
	v_fma_f64 v[18:19], v[26:27], s[22:23], v[0:1]
	v_fma_f64 v[0:1], v[16:17], s[12:13], -v[0:1]
	v_fma_f64 v[4:5], v[16:17], s[14:15], -v[4:5]
	v_mul_f64_e32 v[16:17], s[20:21], v[118:119]
	v_fma_f64 v[20:21], v[120:121], s[2:3], -v[20:21]
	v_add_f64_e32 v[6:7], v[249:250], v[2:3]
	s_delay_alu instid0(VALU_DEP_3) | instskip(SKIP_1) | instid1(VALU_DEP_3)
	v_fma_f64 v[22:23], v[120:121], s[10:11], v[16:17]
	v_fma_f64 v[16:17], v[122:123], s[6:7], -v[16:17]
	v_fma_f64 v[2:3], v[2:3], s[18:19], v[6:7]
	ds_store_b64 v136, v[6:7] offset:13720
	v_fma_f64 v[16:17], v[116:117], s[0:1], v[16:17]
	v_add_f64_e32 v[18:19], v[18:19], v[2:3]
	v_add_f64_e32 v[0:1], v[0:1], v[2:3]
	v_add_f64_e32 v[2:3], v[4:5], v[2:3]
	v_fma_f64 v[4:5], v[116:117], s[0:1], v[20:21]
	v_fma_f64 v[20:21], v[116:117], s[0:1], v[22:23]
	v_add_f64_e32 v[22:23], v[130:131], v[166:167]
	s_delay_alu instid0(VALU_DEP_4)
	v_add_f64_e32 v[6:7], v[16:17], v[2:3]
	v_add_f64_e64 v[2:3], v[2:3], -v[16:17]
	v_add_f64_e64 v[16:17], v[0:1], -v[4:5]
	;; [unrolled: 1-line block ×3, first 2 shown]
	v_add_f64_e32 v[22:23], v[174:175], v[22:23]
	ds_store_2addr_b64 v152, v[24:25], v[16:17] offset1:1
	ds_store_2addr_b64 v196, v[6:7], v[2:3] offset1:1
	v_add_f64_e32 v[0:1], v[4:5], v[0:1]
	v_add_f64_e32 v[2:3], v[20:21], v[18:19]
	;; [unrolled: 1-line block ×3, first 2 shown]
	v_add_f64_e64 v[4:5], v[174:175], -v[130:131]
	v_add_f64_e64 v[16:17], v[172:173], -v[188:189]
	;; [unrolled: 1-line block ×3, first 2 shown]
	v_add_f64_e32 v[6:7], v[172:173], v[188:189]
	v_add_f64_e64 v[18:19], v[164:165], -v[172:173]
	ds_store_2addr_b64 v197, v[0:1], v[2:3] offset1:1
	ds_store_b64 v136, v[12:13] offset:16464
	v_add_f64_e64 v[2:3], v[166:167], -v[174:175]
	v_add_f64_e64 v[0:1], v[130:131], -v[166:167]
	v_fma_f64 v[12:13], v[22:23], s[18:19], v[12:13]
	v_mul_f64_e32 v[22:23], s[22:23], v[4:5]
	v_mul_f64_e32 v[16:17], s[20:21], v[16:17]
	v_add_f64_e32 v[6:7], v[6:7], v[164:165]
	v_add_nc_u16 v136, v253, 0x93
	v_mul_f64_e32 v[2:3], s[16:17], v[2:3]
	s_delay_alu instid0(VALU_DEP_1)
	v_fma_f64 v[4:5], v[4:5], s[22:23], v[2:3]
	v_fma_f64 v[2:3], v[0:1], s[12:13], -v[2:3]
	v_fma_f64 v[0:1], v[0:1], s[14:15], -v[22:23]
	v_mul_f64_e32 v[22:23], s[6:7], v[20:21]
	v_fma_f64 v[20:21], v[20:21], s[6:7], -v[16:17]
	v_fma_f64 v[16:17], v[18:19], s[10:11], v[16:17]
	v_add_f64_e32 v[4:5], v[4:5], v[12:13]
	v_add_f64_e32 v[2:3], v[2:3], v[12:13]
	v_add_f64_e32 v[0:1], v[0:1], v[12:13]
	v_fma_f64 v[22:23], v[18:19], s[2:3], -v[22:23]
	v_fma_f64 v[12:13], v[6:7], s[0:1], v[20:21]
	s_delay_alu instid0(VALU_DEP_2) | instskip(SKIP_1) | instid1(VALU_DEP_3)
	v_fma_f64 v[18:19], v[6:7], s[0:1], v[22:23]
	v_fma_f64 v[6:7], v[6:7], s[0:1], v[16:17]
	v_add_f64_e32 v[16:17], v[12:13], v[0:1]
	v_add_f64_e64 v[0:1], v[0:1], -v[12:13]
	s_delay_alu instid0(VALU_DEP_4) | instskip(NEXT) | instid1(VALU_DEP_4)
	v_add_f64_e64 v[12:13], v[2:3], -v[18:19]
	v_add_f64_e64 v[20:21], v[4:5], -v[6:7]
	ds_store_2addr_b64 v205, v[20:21], v[12:13] offset1:1
	ds_store_2addr_b64 v206, v[16:17], v[0:1] offset1:1
	v_add_f64_e32 v[0:1], v[18:19], v[2:3]
	v_add_f64_e32 v[2:3], v[6:7], v[4:5]
	ds_store_2addr_b64 v209, v[0:1], v[2:3] offset1:1
	v_and_b32_e32 v0, 0xff, v253
	global_wb scope:SCOPE_SE
	s_wait_dscnt 0x0
	s_barrier_signal -1
	s_barrier_wait -1
	global_inv scope:SCOPE_SE
	v_mul_lo_u16 v0, v0, 37
	ds_load_2addr_b64 v[4:7], v147 offset0:174 offset1:223
	v_lshrrev_b16 v0, 8, v0
	s_delay_alu instid0(VALU_DEP_1) | instskip(NEXT) | instid1(VALU_DEP_1)
	v_sub_nc_u16 v1, v253, v0
	v_lshrrev_b16 v1, 1, v1
	s_delay_alu instid0(VALU_DEP_1) | instskip(NEXT) | instid1(VALU_DEP_1)
	v_and_b32_e32 v1, 0x7f, v1
	v_add_nc_u16 v0, v1, v0
	s_delay_alu instid0(VALU_DEP_1) | instskip(NEXT) | instid1(VALU_DEP_1)
	v_lshrrev_b16 v226, 2, v0
	v_mul_lo_u16 v0, v226, 7
	s_delay_alu instid0(VALU_DEP_1) | instskip(NEXT) | instid1(VALU_DEP_1)
	v_sub_nc_u16 v0, v253, v0
	v_and_b32_e32 v138, 0xff, v0
	s_delay_alu instid0(VALU_DEP_1) | instskip(NEXT) | instid1(VALU_DEP_1)
	v_mul_u32_u24_e32 v0, 6, v138
	v_lshlrev_b32_e32 v16, 4, v0
	s_clause 0x1
	global_load_b128 v[0:3], v16, s[4:5] offset:16
	global_load_b128 v[178:181], v16, s[4:5]
	s_wait_loadcnt_dscnt 0x100
	v_mul_f64_e32 v[12:13], v[4:5], v[2:3]
	v_mul_f64_e32 v[2:3], v[112:113], v[2:3]
	s_delay_alu instid0(VALU_DEP_2) | instskip(NEXT) | instid1(VALU_DEP_2)
	v_fma_f64 v[239:240], v[112:113], v[0:1], -v[12:13]
	v_fma_f64 v[182:183], v[4:5], v[0:1], v[2:3]
	v_add_nc_u16 v0, v253, 49
	s_delay_alu instid0(VALU_DEP_1) | instskip(NEXT) | instid1(VALU_DEP_1)
	v_dual_mov_b32 v12, v156 :: v_dual_and_b32 v1, 0xff, v0
	v_mul_lo_u16 v1, v1, 37
	s_delay_alu instid0(VALU_DEP_1) | instskip(NEXT) | instid1(VALU_DEP_1)
	v_lshrrev_b16 v1, 8, v1
	v_sub_nc_u16 v2, v0, v1
	s_delay_alu instid0(VALU_DEP_1) | instskip(NEXT) | instid1(VALU_DEP_1)
	v_lshrrev_b16 v2, 1, v2
	v_and_b32_e32 v2, 0x7f, v2
	s_delay_alu instid0(VALU_DEP_1) | instskip(NEXT) | instid1(VALU_DEP_1)
	v_add_nc_u16 v1, v2, v1
	v_lshrrev_b16 v137, 2, v1
	s_delay_alu instid0(VALU_DEP_1) | instskip(NEXT) | instid1(VALU_DEP_1)
	v_mul_lo_u16 v1, v137, 7
	v_sub_nc_u16 v0, v0, v1
	s_delay_alu instid0(VALU_DEP_1) | instskip(NEXT) | instid1(VALU_DEP_1)
	v_and_b32_e32 v139, 0xff, v0
	v_mul_u32_u24_e32 v0, 6, v139
	s_delay_alu instid0(VALU_DEP_1)
	v_lshlrev_b32_e32 v128, 4, v0
	s_clause 0x2
	global_load_b128 v[2:5], v128, s[4:5] offset:16
	global_load_b128 v[18:21], v128, s[4:5]
	global_load_b128 v[227:230], v16, s[4:5] offset:32
	s_wait_loadcnt 0x2
	v_mul_f64_e32 v[0:1], v[6:7], v[4:5]
	s_delay_alu instid0(VALU_DEP_1)
	v_fma_f64 v[154:155], v[114:115], v[2:3], -v[0:1]
	v_mul_f64_e32 v[0:1], v[114:115], v[4:5]
	ds_load_2addr_b64 v[112:115], v156 offset0:92 offset1:141
	v_fma_f64 v[162:163], v[6:7], v[2:3], v[0:1]
	s_clause 0x2
	global_load_b128 v[4:7], v16, s[4:5] offset:48
	global_load_b128 v[116:119], v128, s[4:5] offset:48
	;; [unrolled: 1-line block ×3, first 2 shown]
	s_wait_loadcnt_dscnt 0x200
	v_mul_f64_e32 v[0:1], v[112:113], v[6:7]
	s_delay_alu instid0(VALU_DEP_1) | instskip(SKIP_1) | instid1(VALU_DEP_1)
	v_fma_f64 v[216:217], v[108:109], v[4:5], -v[0:1]
	v_mul_f64_e32 v[0:1], v[108:109], v[6:7]
	v_fma_f64 v[200:201], v[112:113], v[4:5], v[0:1]
	s_wait_loadcnt 0x1
	v_mul_f64_e32 v[0:1], v[114:115], v[118:119]
	s_delay_alu instid0(VALU_DEP_1) | instskip(SKIP_1) | instid1(VALU_DEP_1)
	v_fma_f64 v[134:135], v[110:111], v[116:117], -v[0:1]
	v_mul_f64_e32 v[0:1], v[110:111], v[118:119]
	v_fma_f64 v[148:149], v[114:115], v[116:117], v[0:1]
	s_clause 0x1
	global_load_b128 v[108:111], v16, s[4:5] offset:80
	global_load_b128 v[0:3], v16, s[4:5] offset:64
	ds_load_2addr_b64 v[24:27], v199 offset0:10 offset1:59
	s_wait_loadcnt_dscnt 0x100
	v_mul_f64_e32 v[6:7], v[24:25], v[110:111]
	v_mul_f64_e32 v[16:17], v[104:105], v[110:111]
	s_delay_alu instid0(VALU_DEP_2) | instskip(NEXT) | instid1(VALU_DEP_2)
	v_fma_f64 v[22:23], v[104:105], v[108:109], -v[6:7]
	v_fma_f64 v[218:219], v[24:25], v[108:109], v[16:17]
	s_clause 0x1
	global_load_b128 v[108:111], v128, s[4:5] offset:80
	global_load_b128 v[112:115], v128, s[4:5] offset:64
	s_wait_loadcnt 0x1
	v_mul_f64_e32 v[24:25], v[26:27], v[110:111]
	s_delay_alu instid0(VALU_DEP_1) | instskip(SKIP_1) | instid1(VALU_DEP_1)
	v_fma_f64 v[164:165], v[106:107], v[108:109], -v[24:25]
	v_mul_f64_e32 v[24:25], v[106:107], v[110:111]
	v_fma_f64 v[210:211], v[26:27], v[108:109], v[24:25]
	ds_load_2addr_b64 v[24:27], v243 offset0:136 offset1:185
	s_wait_dscnt 0x0
	v_mul_f64_e32 v[104:105], v[24:25], v[20:21]
	v_mul_f64_e32 v[20:21], v[100:101], v[20:21]
	s_delay_alu instid0(VALU_DEP_2) | instskip(NEXT) | instid1(VALU_DEP_2)
	v_fma_f64 v[16:17], v[100:101], v[18:19], -v[104:105]
	v_fma_f64 v[172:173], v[24:25], v[18:19], v[20:21]
	v_and_b32_e32 v18, 0xff, v176
	s_delay_alu instid0(VALU_DEP_1) | instskip(NEXT) | instid1(VALU_DEP_1)
	v_mul_lo_u16 v18, v18, 37
	v_lshrrev_b16 v18, 8, v18
	s_delay_alu instid0(VALU_DEP_1) | instskip(NEXT) | instid1(VALU_DEP_1)
	v_sub_nc_u16 v19, v176, v18
	v_lshrrev_b16 v19, 1, v19
	s_delay_alu instid0(VALU_DEP_1) | instskip(NEXT) | instid1(VALU_DEP_1)
	v_and_b32_e32 v19, 0x7f, v19
	v_add_nc_u16 v18, v19, v18
	s_delay_alu instid0(VALU_DEP_1) | instskip(NEXT) | instid1(VALU_DEP_1)
	v_lshrrev_b16 v106, 2, v18
	v_mul_lo_u16 v18, v106, 7
	s_delay_alu instid0(VALU_DEP_1) | instskip(NEXT) | instid1(VALU_DEP_1)
	v_sub_nc_u16 v18, v176, v18
	v_and_b32_e32 v107, 0xff, v18
	s_delay_alu instid0(VALU_DEP_1) | instskip(NEXT) | instid1(VALU_DEP_1)
	v_mul_u32_u24_e32 v18, 6, v107
	v_lshlrev_b32_e32 v104, 4, v18
	s_clause 0x1
	global_load_b128 v[18:21], v104, s[4:5]
	global_load_b128 v[108:111], v104, s[4:5] offset:16
	s_wait_loadcnt 0x1
	v_mul_f64_e32 v[24:25], v[26:27], v[20:21]
	v_mul_f64_e32 v[20:21], v[102:103], v[20:21]
	s_delay_alu instid0(VALU_DEP_2) | instskip(NEXT) | instid1(VALU_DEP_2)
	v_fma_f64 v[156:157], v[102:103], v[18:19], -v[24:25]
	v_fma_f64 v[166:167], v[26:27], v[18:19], v[20:21]
	ds_load_2addr_b64 v[18:21], v146 offset0:54 offset1:103
	s_wait_dscnt 0x0
	v_mul_f64_e32 v[24:25], v[18:19], v[122:123]
	s_delay_alu instid0(VALU_DEP_1) | instskip(SKIP_1) | instid1(VALU_DEP_1)
	v_fma_f64 v[231:232], v[96:97], v[120:121], -v[24:25]
	v_mul_f64_e32 v[24:25], v[96:97], v[122:123]
	v_fma_f64 v[28:29], v[18:19], v[120:121], v[24:25]
	s_clause 0x1
	global_load_b128 v[24:27], v104, s[4:5] offset:32
	global_load_b128 v[100:103], v104, s[4:5] offset:48
	s_wait_loadcnt 0x1
	v_mul_f64_e32 v[18:19], v[20:21], v[26:27]
	s_delay_alu instid0(VALU_DEP_1) | instskip(SKIP_1) | instid1(VALU_DEP_1)
	v_fma_f64 v[235:236], v[98:99], v[24:25], -v[18:19]
	v_mul_f64_e32 v[18:19], v[98:99], v[26:27]
	v_fma_f64 v[30:31], v[20:21], v[24:25], v[18:19]
	ds_load_2addr_b64 v[18:21], v214 offset0:100 offset1:149
	s_wait_dscnt 0x0
	v_mul_f64_e32 v[24:25], v[18:19], v[114:115]
	s_delay_alu instid0(VALU_DEP_1) | instskip(SKIP_1) | instid1(VALU_DEP_1)
	v_fma_f64 v[120:121], v[92:93], v[112:113], -v[24:25]
	v_mul_f64_e32 v[24:25], v[92:93], v[114:115]
	v_fma_f64 v[191:192], v[18:19], v[112:113], v[24:25]
	s_clause 0x1
	global_load_b128 v[24:27], v104, s[4:5] offset:64
	global_load_b128 v[96:99], v104, s[4:5] offset:80
	s_wait_loadcnt 0x1
	v_mul_f64_e32 v[18:19], v[20:21], v[26:27]
	s_delay_alu instid0(VALU_DEP_1) | instskip(SKIP_1) | instid1(VALU_DEP_1)
	v_fma_f64 v[112:113], v[94:95], v[24:25], -v[18:19]
	v_mul_f64_e32 v[18:19], v[94:95], v[26:27]
	v_fma_f64 v[122:123], v[20:21], v[24:25], v[18:19]
	ds_load_2addr_b64 v[18:21], v153 offset0:16 offset1:65
	s_wait_dscnt 0x0
	v_mul_f64_e32 v[24:25], v[18:19], v[110:111]
	s_delay_alu instid0(VALU_DEP_1) | instskip(SKIP_1) | instid1(VALU_DEP_1)
	v_fma_f64 v[128:129], v[88:89], v[108:109], -v[24:25]
	v_mul_f64_e32 v[24:25], v[88:89], v[110:111]
	v_fma_f64 v[110:111], v[18:19], v[108:109], v[24:25]
	v_and_b32_e32 v18, 0xff, v136
	s_delay_alu instid0(VALU_DEP_1) | instskip(NEXT) | instid1(VALU_DEP_1)
	v_mul_lo_u16 v18, v18, 37
	v_lshrrev_b16 v18, 8, v18
	s_delay_alu instid0(VALU_DEP_1) | instskip(NEXT) | instid1(VALU_DEP_1)
	v_sub_nc_u16 v19, v136, v18
	v_lshrrev_b16 v19, 1, v19
	s_delay_alu instid0(VALU_DEP_1) | instskip(NEXT) | instid1(VALU_DEP_1)
	v_and_b32_e32 v19, 0x7f, v19
	v_add_nc_u16 v18, v19, v18
	s_delay_alu instid0(VALU_DEP_1) | instskip(NEXT) | instid1(VALU_DEP_1)
	v_lshrrev_b16 v88, 2, v18
	v_mul_lo_u16 v18, v88, 7
	s_delay_alu instid0(VALU_DEP_1) | instskip(NEXT) | instid1(VALU_DEP_1)
	v_sub_nc_u16 v18, v136, v18
	v_and_b32_e32 v89, 0xff, v18
	s_delay_alu instid0(VALU_DEP_1) | instskip(NEXT) | instid1(VALU_DEP_1)
	v_mul_u32_u24_e32 v18, 6, v89
	v_lshlrev_b32_e32 v104, 4, v18
	s_clause 0x1
	global_load_b128 v[24:27], v104, s[4:5] offset:16
	global_load_b128 v[92:95], v104, s[4:5]
	s_wait_loadcnt 0x1
	v_mul_f64_e32 v[18:19], v[20:21], v[26:27]
	s_delay_alu instid0(VALU_DEP_1) | instskip(SKIP_1) | instid1(VALU_DEP_1)
	v_fma_f64 v[184:185], v[90:91], v[24:25], -v[18:19]
	v_mul_f64_e32 v[18:19], v[90:91], v[26:27]
	v_fma_f64 v[4:5], v[20:21], v[24:25], v[18:19]
	ds_load_2addr_b64 v[18:21], v12 offset0:190 offset1:239
	s_wait_dscnt 0x0
	v_mul_f64_e32 v[24:25], v[18:19], v[102:103]
	s_delay_alu instid0(VALU_DEP_1)
	v_fma_f64 v[233:234], v[84:85], v[100:101], -v[24:25]
	v_mul_f64_e32 v[24:25], v[84:85], v[102:103]
	scratch_store_b64 off, v[4:5], off offset:104 ; 8-byte Folded Spill
	v_fma_f64 v[220:221], v[18:19], v[100:101], v[24:25]
	s_clause 0x1
	scratch_store_b64 off, v[233:234], off offset:160
	scratch_store_b64 off, v[220:221], off offset:176
	s_clause 0x1
	global_load_b128 v[24:27], v104, s[4:5] offset:48
	global_load_b128 v[100:103], v104, s[4:5] offset:32
	s_wait_loadcnt 0x1
	v_mul_f64_e32 v[18:19], v[20:21], v[26:27]
	s_delay_alu instid0(VALU_DEP_1) | instskip(SKIP_1) | instid1(VALU_DEP_1)
	v_fma_f64 v[118:119], v[86:87], v[24:25], -v[18:19]
	v_mul_f64_e32 v[18:19], v[86:87], v[26:27]
	v_fma_f64 v[188:189], v[20:21], v[24:25], v[18:19]
	ds_load_2addr_b64 v[18:21], v199 offset0:108 offset1:157
	s_wait_dscnt 0x0
	v_mul_f64_e32 v[24:25], v[18:19], v[98:99]
	s_delay_alu instid0(VALU_DEP_1) | instskip(SKIP_1) | instid1(VALU_DEP_1)
	v_fma_f64 v[150:151], v[80:81], v[96:97], -v[24:25]
	v_mul_f64_e32 v[24:25], v[80:81], v[98:99]
	v_fma_f64 v[237:238], v[18:19], v[96:97], v[24:25]
	s_clause 0x1
	scratch_store_b64 off, v[150:151], off offset:168
	scratch_store_b64 off, v[237:238], off offset:288
	s_clause 0x1
	global_load_b128 v[24:27], v104, s[4:5] offset:80
	global_load_b128 v[84:87], v104, s[4:5] offset:64
	s_wait_loadcnt 0x1
	v_mul_f64_e32 v[18:19], v[20:21], v[26:27]
	s_delay_alu instid0(VALU_DEP_1) | instskip(SKIP_1) | instid1(VALU_DEP_1)
	v_fma_f64 v[108:109], v[82:83], v[24:25], -v[18:19]
	v_mul_f64_e32 v[18:19], v[82:83], v[26:27]
	v_fma_f64 v[142:143], v[20:21], v[24:25], v[18:19]
	ds_load_2addr_b64 v[18:21], v215 offset0:106 offset1:155
	s_wait_dscnt 0x0
	v_mul_f64_e32 v[24:25], v[18:19], v[94:95]
	s_delay_alu instid0(VALU_DEP_1) | instskip(SKIP_1) | instid1(VALU_DEP_1)
	v_fma_f64 v[116:117], v[76:77], v[92:93], -v[24:25]
	v_mul_f64_e32 v[24:25], v[76:77], v[94:95]
	v_fma_f64 v[197:198], v[18:19], v[92:93], v[24:25]
	v_add_nc_u32_e32 v24, 0xc4, v253
	s_delay_alu instid0(VALU_DEP_1) | instskip(SKIP_2) | instid1(VALU_DEP_1)
	v_and_b32_e32 v18, 0xff, v24
	scratch_store_b32 off, v24, off offset:16 ; 4-byte Folded Spill
	v_mul_lo_u16 v18, v18, 37
	v_lshrrev_b16 v18, 8, v18
	s_delay_alu instid0(VALU_DEP_1) | instskip(NEXT) | instid1(VALU_DEP_1)
	v_sub_nc_u16 v19, v24, v18
	v_lshrrev_b16 v19, 1, v19
	s_delay_alu instid0(VALU_DEP_1) | instskip(NEXT) | instid1(VALU_DEP_1)
	v_and_b32_e32 v19, 0x7f, v19
	v_add_nc_u16 v18, v19, v18
	s_delay_alu instid0(VALU_DEP_1) | instskip(NEXT) | instid1(VALU_DEP_1)
	v_lshrrev_b16 v76, 2, v18
	v_mul_lo_u16 v18, v76, 7
	s_delay_alu instid0(VALU_DEP_1) | instskip(NEXT) | instid1(VALU_DEP_1)
	v_sub_nc_u16 v18, v24, v18
	v_and_b32_e32 v77, 0xff, v18
	s_delay_alu instid0(VALU_DEP_1) | instskip(NEXT) | instid1(VALU_DEP_1)
	v_mul_u32_u24_e32 v18, 6, v77
	v_lshlrev_b32_e32 v94, 4, v18
	s_clause 0x1
	global_load_b128 v[24:27], v94, s[4:5]
	global_load_b128 v[80:83], v94, s[4:5] offset:16
	s_wait_loadcnt 0x1
	v_mul_f64_e32 v[18:19], v[20:21], v[26:27]
	s_delay_alu instid0(VALU_DEP_1) | instskip(SKIP_1) | instid1(VALU_DEP_1)
	v_fma_f64 v[96:97], v[78:79], v[24:25], -v[18:19]
	v_mul_f64_e32 v[18:19], v[78:79], v[26:27]
	v_fma_f64 v[4:5], v[20:21], v[24:25], v[18:19]
	ds_load_2addr_b64 v[18:21], v146 offset0:152 offset1:201
	s_wait_dscnt 0x0
	v_mul_f64_e32 v[24:25], v[18:19], v[102:103]
	s_delay_alu instid0(VALU_DEP_1)
	v_fma_f64 v[222:223], v[72:73], v[100:101], -v[24:25]
	v_mul_f64_e32 v[24:25], v[72:73], v[102:103]
	scratch_store_b64 off, v[4:5], off offset:96 ; 8-byte Folded Spill
	v_mov_b32_e32 v4, v194
	v_fma_f64 v[158:159], v[18:19], v[100:101], v[24:25]
	s_clause 0x1
	scratch_store_b64 off, v[222:223], off offset:112
	scratch_store_b64 off, v[158:159], off offset:304
	s_clause 0x1
	global_load_b128 v[24:27], v94, s[4:5] offset:32
	global_load_b128 v[90:93], v94, s[4:5] offset:48
	s_wait_loadcnt 0x1
	v_mul_f64_e32 v[18:19], v[20:21], v[26:27]
	s_delay_alu instid0(VALU_DEP_1) | instskip(SKIP_1) | instid1(VALU_DEP_1)
	v_fma_f64 v[174:175], v[74:75], v[24:25], -v[18:19]
	v_mul_f64_e32 v[18:19], v[74:75], v[26:27]
	v_fma_f64 v[114:115], v[20:21], v[24:25], v[18:19]
	ds_load_2addr_b64 v[18:21], v194 offset0:70 offset1:119
	s_wait_dscnt 0x0
	v_mul_f64_e32 v[24:25], v[18:19], v[86:87]
	s_delay_alu instid0(VALU_DEP_1) | instskip(SKIP_1) | instid1(VALU_DEP_1)
	v_fma_f64 v[130:131], v[68:69], v[84:85], -v[24:25]
	v_mul_f64_e32 v[24:25], v[68:69], v[86:87]
	v_fma_f64 v[246:247], v[18:19], v[84:85], v[24:25]
	s_clause 0x1
	scratch_store_b64 off, v[130:131], off offset:120
	scratch_store_b64 off, v[246:247], off offset:336
	s_clause 0x1
	global_load_b128 v[24:27], v94, s[4:5] offset:64
	global_load_b128 v[72:75], v94, s[4:5] offset:80
	s_wait_loadcnt 0x1
	v_mul_f64_e32 v[18:19], v[20:21], v[26:27]
	s_delay_alu instid0(VALU_DEP_1) | instskip(SKIP_1) | instid1(VALU_DEP_1)
	v_fma_f64 v[140:141], v[70:71], v[24:25], -v[18:19]
	v_mul_f64_e32 v[18:19], v[70:71], v[26:27]
	v_fma_f64 v[193:194], v[20:21], v[24:25], v[18:19]
	ds_load_2addr_b64 v[18:21], v153 offset0:114 offset1:163
	s_wait_dscnt 0x0
	v_mul_f64_e32 v[24:25], v[18:19], v[82:83]
	s_delay_alu instid0(VALU_DEP_1) | instskip(SKIP_1) | instid1(VALU_DEP_1)
	v_fma_f64 v[195:196], v[64:65], v[80:81], -v[24:25]
	v_mul_f64_e32 v[24:25], v[64:65], v[82:83]
	v_fma_f64 v[208:209], v[18:19], v[80:81], v[24:25]
	v_add_nc_u32_e32 v24, 0xf5, v253
	s_delay_alu instid0(VALU_DEP_1) | instskip(SKIP_2) | instid1(VALU_DEP_1)
	v_and_b32_e32 v18, 0xffff, v24
	scratch_store_b32 off, v24, off         ; 4-byte Folded Spill
	v_mul_u32_u24_e32 v18, 0x2493, v18
	v_lshrrev_b32_e32 v18, 16, v18
	s_delay_alu instid0(VALU_DEP_1) | instskip(NEXT) | instid1(VALU_DEP_1)
	v_sub_nc_u16 v19, v24, v18
	v_lshrrev_b16 v19, 1, v19
	s_delay_alu instid0(VALU_DEP_1) | instskip(NEXT) | instid1(VALU_DEP_1)
	v_add_nc_u16 v18, v19, v18
	v_lshrrev_b16 v64, 2, v18
	s_delay_alu instid0(VALU_DEP_1) | instskip(NEXT) | instid1(VALU_DEP_1)
	v_mul_lo_u16 v18, v64, 7
	v_sub_nc_u16 v18, v24, v18
	s_delay_alu instid0(VALU_DEP_1) | instskip(NEXT) | instid1(VALU_DEP_1)
	v_and_b32_e32 v65, 0xffff, v18
	v_mul_u32_u24_e32 v18, 6, v65
	s_delay_alu instid0(VALU_DEP_1)
	v_lshlrev_b32_e32 v82, 4, v18
	s_clause 0x1
	global_load_b128 v[24:27], v82, s[4:5] offset:16
	global_load_b128 v[68:71], v82, s[4:5]
	s_wait_loadcnt 0x1
	v_mul_f64_e32 v[18:19], v[20:21], v[26:27]
	s_delay_alu instid0(VALU_DEP_1) | instskip(SKIP_2) | instid1(VALU_DEP_2)
	v_fma_f64 v[94:95], v[66:67], v[24:25], -v[18:19]
	v_mul_f64_e32 v[18:19], v[66:67], v[26:27]
	v_mov_b32_e32 v67, v177
	v_fma_f64 v[5:6], v[20:21], v[24:25], v[18:19]
	ds_load_2addr_b64 v[18:21], v124 offset0:32 offset1:81
	s_wait_dscnt 0x0
	v_mul_f64_e32 v[24:25], v[18:19], v[92:93]
	s_delay_alu instid0(VALU_DEP_1)
	v_fma_f64 v[224:225], v[60:61], v[90:91], -v[24:25]
	v_mul_f64_e32 v[24:25], v[60:61], v[92:93]
	scratch_store_b64 off, v[5:6], off offset:72 ; 8-byte Folded Spill
	v_fma_f64 v[160:161], v[18:19], v[90:91], v[24:25]
	s_clause 0x1
	scratch_store_b64 off, v[224:225], off offset:200
	scratch_store_b64 off, v[160:161], off offset:320
	s_clause 0x1
	global_load_b128 v[24:27], v82, s[4:5] offset:48
	global_load_b128 v[78:81], v82, s[4:5] offset:32
	s_wait_loadcnt 0x1
	v_mul_f64_e32 v[18:19], v[20:21], v[26:27]
	s_delay_alu instid0(VALU_DEP_1) | instskip(SKIP_1) | instid1(VALU_DEP_1)
	v_fma_f64 v[90:91], v[62:63], v[24:25], -v[18:19]
	v_mul_f64_e32 v[18:19], v[62:63], v[26:27]
	v_fma_f64 v[92:93], v[20:21], v[24:25], v[18:19]
	ds_load_2addr_b64 v[18:21], v199 offset0:206 offset1:255
	s_wait_dscnt 0x0
	v_mul_f64_e32 v[24:25], v[18:19], v[74:75]
	s_delay_alu instid0(VALU_DEP_1) | instskip(SKIP_1) | instid1(VALU_DEP_1)
	v_fma_f64 v[241:242], v[56:57], v[72:73], -v[24:25]
	v_mul_f64_e32 v[24:25], v[56:57], v[74:75]
	v_fma_f64 v[248:249], v[18:19], v[72:73], v[24:25]
	s_clause 0x1
	scratch_store_b64 off, v[241:242], off offset:208
	scratch_store_b64 off, v[248:249], off offset:352
	s_clause 0x1
	global_load_b128 v[24:27], v82, s[4:5] offset:80
	global_load_b128 v[60:63], v82, s[4:5] offset:64
	s_wait_loadcnt 0x1
	v_mul_f64_e32 v[18:19], v[20:21], v[26:27]
	s_delay_alu instid0(VALU_DEP_1) | instskip(SKIP_1) | instid1(VALU_DEP_1)
	v_fma_f64 v[152:153], v[58:59], v[24:25], -v[18:19]
	v_mul_f64_e32 v[18:19], v[58:59], v[26:27]
	v_fma_f64 v[204:205], v[20:21], v[24:25], v[18:19]
	ds_load_2addr_b64 v[18:21], v147 offset0:76 offset1:125
	s_wait_dscnt 0x0
	v_mul_f64_e32 v[24:25], v[18:19], v[70:71]
	s_delay_alu instid0(VALU_DEP_1) | instskip(SKIP_2) | instid1(VALU_DEP_2)
	v_fma_f64 v[206:207], v[52:53], v[68:69], -v[24:25]
	v_mul_f64_e32 v[24:25], v[52:53], v[70:71]
	v_mov_b32_e32 v70, v187
	v_fma_f64 v[124:125], v[18:19], v[68:69], v[24:25]
	v_and_b32_e32 v18, 0xffff, v212
	s_delay_alu instid0(VALU_DEP_1) | instskip(NEXT) | instid1(VALU_DEP_1)
	v_mul_u32_u24_e32 v18, 0x2493, v18
	v_lshrrev_b32_e32 v18, 16, v18
	s_delay_alu instid0(VALU_DEP_1) | instskip(NEXT) | instid1(VALU_DEP_1)
	v_sub_nc_u16 v19, v212, v18
	v_lshrrev_b16 v19, 1, v19
	s_delay_alu instid0(VALU_DEP_1) | instskip(NEXT) | instid1(VALU_DEP_1)
	v_add_nc_u16 v18, v19, v18
	v_lshrrev_b16 v75, 2, v18
	s_delay_alu instid0(VALU_DEP_1) | instskip(NEXT) | instid1(VALU_DEP_1)
	v_mul_lo_u16 v18, v75, 7
	v_sub_nc_u16 v18, v212, v18
	s_delay_alu instid0(VALU_DEP_1) | instskip(NEXT) | instid1(VALU_DEP_1)
	v_and_b32_e32 v215, 0xffff, v18
	v_mul_u32_u24_e32 v18, 6, v215
	s_delay_alu instid0(VALU_DEP_1)
	v_lshlrev_b32_e32 v66, 4, v18
	s_clause 0x1
	global_load_b128 v[24:27], v66, s[4:5]
	global_load_b128 v[56:59], v66, s[4:5] offset:16
	s_wait_loadcnt 0x1
	v_mul_f64_e32 v[18:19], v[20:21], v[26:27]
	s_delay_alu instid0(VALU_DEP_1) | instskip(SKIP_1) | instid1(VALU_DEP_1)
	v_fma_f64 v[71:72], v[54:55], v[24:25], -v[18:19]
	v_mul_f64_e32 v[18:19], v[54:55], v[26:27]
	v_fma_f64 v[5:6], v[20:21], v[24:25], v[18:19]
	v_mul_f64_e32 v[20:21], v[46:47], v[229:230]
	ds_load_2addr_b64 v[24:27], v177 offset0:84 offset1:133
	s_wait_dscnt 0x0
	v_mul_f64_e32 v[18:19], v[26:27], v[229:230]
	v_dual_mov_b32 v230, v117 :: v_dual_mov_b32 v229, v116
	v_fma_f64 v[20:21], v[26:27], v[227:228], v[20:21]
	s_wait_loadcnt 0x0
	v_mul_f64_e32 v[26:27], v[24:25], v[58:59]
	s_delay_alu instid0(VALU_DEP_4)
	v_fma_f64 v[12:13], v[46:47], v[227:228], -v[18:19]
	v_dual_mov_b32 v228, v157 :: v_dual_mov_b32 v227, v156
	v_dual_mov_b32 v157, v129 :: v_dual_mov_b32 v156, v128
	;; [unrolled: 1-line block ×4, first 2 shown]
	v_fma_f64 v[82:83], v[44:45], v[56:57], -v[26:27]
	v_mul_f64_e32 v[26:27], v[44:45], v[58:59]
	s_delay_alu instid0(VALU_DEP_1) | instskip(SKIP_3) | instid1(VALU_DEP_1)
	v_fma_f64 v[73:74], v[24:25], v[56:57], v[26:27]
	ds_load_2addr_b64 v[24:27], v132 offset0:122 offset1:171
	s_wait_dscnt 0x0
	v_mul_f64_e32 v[44:45], v[24:25], v[80:81]
	v_fma_f64 v[18:19], v[48:49], v[78:79], -v[44:45]
	v_mul_f64_e32 v[44:45], v[48:49], v[80:81]
	s_clause 0x1
	scratch_store_b64 off, v[5:6], off offset:56
	scratch_store_b64 off, v[18:19], off offset:184
	v_fma_f64 v[244:245], v[24:25], v[78:79], v[44:45]
	s_clause 0x1
	scratch_store_b64 off, v[82:83], off offset:256
	scratch_store_b64 off, v[244:245], off offset:368
	s_clause 0x1
	global_load_b128 v[44:47], v66, s[4:5] offset:32
	global_load_b128 v[54:57], v66, s[4:5] offset:48
	s_wait_loadcnt 0x1
	v_mul_f64_e32 v[24:25], v[26:27], v[46:47]
	s_delay_alu instid0(VALU_DEP_1) | instskip(SKIP_1) | instid1(VALU_DEP_1)
	v_fma_f64 v[78:79], v[50:51], v[44:45], -v[24:25]
	v_mul_f64_e32 v[24:25], v[50:51], v[46:47]
	v_fma_f64 v[80:81], v[26:27], v[44:45], v[24:25]
	ds_load_2addr_b64 v[44:47], v187 offset0:130 offset1:179
	v_dual_mov_b32 v187, v113 :: v_dual_mov_b32 v186, v112
	v_dual_mov_b32 v113, v97 :: v_dual_mov_b32 v112, v96
	s_wait_dscnt 0x0
	v_mul_f64_e32 v[24:25], v[46:47], v[2:3]
	v_mul_f64_e32 v[2:3], v[38:39], v[2:3]
	s_delay_alu instid0(VALU_DEP_2) | instskip(NEXT) | instid1(VALU_DEP_2)
	v_fma_f64 v[26:27], v[38:39], v[0:1], -v[24:25]
	v_fma_f64 v[38:39], v[46:47], v[0:1], v[2:3]
	s_wait_loadcnt 0x0
	v_mul_f64_e32 v[0:1], v[44:45], v[56:57]
	s_delay_alu instid0(VALU_DEP_1) | instskip(SKIP_1) | instid1(VALU_DEP_1)
	v_fma_f64 v[213:214], v[36:37], v[54:55], -v[0:1]
	v_mul_f64_e32 v[0:1], v[36:37], v[56:57]
	v_fma_f64 v[126:127], v[44:45], v[54:55], v[0:1]
	ds_load_2addr_b64 v[0:3], v4 offset0:168 offset1:217
	s_wait_dscnt 0x0
	v_mul_f64_e32 v[24:25], v[0:1], v[62:63]
	s_delay_alu instid0(VALU_DEP_1)
	v_fma_f64 v[250:251], v[40:41], v[60:61], -v[24:25]
	s_clause 0x1
	scratch_store_b64 off, v[78:79], off offset:224
	scratch_store_b64 off, v[213:214], off offset:216
	v_mul_f64_e32 v[24:25], v[40:41], v[62:63]
	scratch_store_b64 off, v[250:251], off offset:192 ; 8-byte Folded Spill
	s_clause 0x1
	global_load_b128 v[44:47], v66, s[4:5] offset:64
	global_load_b128 v[48:51], v66, s[4:5] offset:80
	ds_load_2addr_b64 v[84:87], v243 offset0:38 offset1:87
	v_fma_f64 v[252:253], v[0:1], v[60:61], v[24:25]
	s_wait_loadcnt 0x1
	v_mul_f64_e32 v[0:1], v[2:3], v[46:47]
	s_delay_alu instid0(VALU_DEP_1) | instskip(SKIP_1) | instid1(VALU_DEP_1)
	v_fma_f64 v[4:5], v[42:43], v[44:45], -v[0:1]
	v_mul_f64_e32 v[0:1], v[42:43], v[46:47]
	v_fma_f64 v[6:7], v[2:3], v[44:45], v[0:1]
	ds_load_b64 v[0:1], v255 offset:18816
	v_add_f64_e64 v[44:45], v[182:183], -v[38:39]
	s_wait_loadcnt_dscnt 0x0
	v_mul_f64_e32 v[2:3], v[0:1], v[50:51]
	s_delay_alu instid0(VALU_DEP_1)
	v_fma_f64 v[52:53], v[14:15], v[48:49], -v[2:3]
	v_mul_f64_e32 v[2:3], v[14:15], v[50:51]
	scratch_store_b64 off, v[4:5], off offset:240 ; 8-byte Folded Spill
	v_dual_mov_b32 v14, v28 :: v_dual_mov_b32 v15, v29
	scratch_store_b64 off, v[52:53], off offset:272 ; 8-byte Folded Spill
	v_fma_f64 v[132:133], v[0:1], v[48:49], v[2:3]
	v_mul_f64_e32 v[0:1], v[86:87], v[180:181]
	s_delay_alu instid0(VALU_DEP_1) | instskip(SKIP_1) | instid1(VALU_DEP_2)
	v_fma_f64 v[68:69], v[10:11], v[178:179], -v[0:1]
	v_mul_f64_e32 v[0:1], v[10:11], v[180:181]
	v_add_f64_e32 v[24:25], v[68:69], v[22:23]
	s_delay_alu instid0(VALU_DEP_2) | instskip(SKIP_4) | instid1(VALU_DEP_4)
	v_fma_f64 v[10:11], v[86:87], v[178:179], v[0:1]
	v_dual_mov_b32 v86, v239 :: v_dual_mov_b32 v87, v240
	v_and_b32_e32 v0, 0xffff, v226
	v_dual_mov_b32 v240, v119 :: v_dual_lshlrev_b32 v1, 3, v138
	v_mov_b32_e32 v239, v118
	v_add_f64_e32 v[36:37], v[86:87], v[26:27]
	s_delay_alu instid0(VALU_DEP_4) | instskip(NEXT) | instid1(VALU_DEP_1)
	v_mul_u32_u24_e32 v0, 0x188, v0
	v_add3_u32 v254, 0, v0, v1
	v_add_f64_e32 v[0:1], v[12:13], v[216:217]
	v_add_f64_e64 v[46:47], v[10:11], -v[218:219]
	v_add_f64_e32 v[2:3], v[36:37], v[24:25]
	s_delay_alu instid0(VALU_DEP_3) | instskip(SKIP_2) | instid1(VALU_DEP_4)
	v_add_f64_e64 v[40:41], v[24:25], -v[0:1]
	v_add_f64_e64 v[42:43], v[0:1], -v[36:37]
	;; [unrolled: 1-line block ×3, first 2 shown]
	v_add_f64_e32 v[2:3], v[0:1], v[2:3]
	v_add_f64_e64 v[0:1], v[200:201], -v[20:21]
	v_mul_f64_e32 v[40:41], s[16:17], v[40:41]
	v_mul_f64_e32 v[36:37], s[22:23], v[42:43]
	s_delay_alu instid0(VALU_DEP_4) | instskip(NEXT) | instid1(VALU_DEP_4)
	v_add_f64_e32 v[32:33], v[32:33], v[2:3]
	v_add_f64_e64 v[50:51], v[0:1], -v[44:45]
	v_add_f64_e32 v[48:49], v[0:1], v[44:45]
	v_add_f64_e64 v[54:55], v[46:47], -v[0:1]
	v_fma_f64 v[0:1], v[42:43], s[22:23], v[40:41]
	v_fma_f64 v[36:37], v[24:25], s[14:15], -v[36:37]
	v_fma_f64 v[24:25], v[24:25], s[12:13], -v[40:41]
	v_fma_f64 v[56:57], v[2:3], s[18:19], v[32:33]
	v_mul_f64_e32 v[50:51], s[20:21], v[50:51]
	v_add_f64_e32 v[48:49], v[48:49], v[46:47]
	s_delay_alu instid0(VALU_DEP_3) | instskip(NEXT) | instid1(VALU_DEP_3)
	v_add_f64_e32 v[58:59], v[0:1], v[56:57]
	v_fma_f64 v[0:1], v[54:55], s[10:11], v[50:51]
	v_add_f64_e32 v[36:37], v[36:37], v[56:57]
	v_add_f64_e32 v[24:25], v[24:25], v[56:57]
	s_delay_alu instid0(VALU_DEP_3)
	v_fma_f64 v[60:61], v[48:49], s[0:1], v[0:1]
	ds_load_2addr_b64 v[0:3], v255 offset1:49
	ds_load_2addr_b64 v[102:105], v255 offset0:98 offset1:147
	ds_load_2addr_b64 v[98:101], v255 offset0:196 offset1:245
	global_wb scope:SCOPE_SE
	s_wait_storecnt_dscnt 0x0
	s_barrier_signal -1
	s_barrier_wait -1
	global_inv scope:SCOPE_SE
	v_add_f64_e32 v[62:63], v[60:61], v[58:59]
	ds_store_2addr_b64 v254, v[32:33], v[62:63] offset1:7
	v_add_f64_e64 v[32:33], v[44:45], -v[46:47]
	v_add_f64_e64 v[46:47], v[148:149], -v[14:15]
	s_delay_alu instid0(VALU_DEP_2) | instskip(SKIP_1) | instid1(VALU_DEP_2)
	v_mul_f64_e32 v[40:41], s[6:7], v[32:33]
	v_fma_f64 v[32:33], v[32:33], s[6:7], -v[50:51]
	v_fma_f64 v[40:41], v[54:55], s[2:3], -v[40:41]
	s_delay_alu instid0(VALU_DEP_2) | instskip(NEXT) | instid1(VALU_DEP_2)
	v_fma_f64 v[32:33], v[48:49], s[0:1], v[32:33]
	v_fma_f64 v[40:41], v[48:49], s[0:1], v[40:41]
	s_delay_alu instid0(VALU_DEP_2)
	v_add_f64_e64 v[44:45], v[36:37], -v[32:33]
	v_add_f64_e32 v[32:33], v[32:33], v[36:37]
	v_add_f64_e32 v[36:37], v[154:155], v[120:121]
	v_add_f64_e64 v[48:49], v[172:173], -v[210:211]
	v_add_f64_e32 v[42:43], v[40:41], v[24:25]
	v_add_f64_e64 v[24:25], v[24:25], -v[40:41]
	v_add_f64_e32 v[40:41], v[231:232], v[134:135]
	ds_store_2addr_b64 v254, v[42:43], v[44:45] offset0:14 offset1:21
	ds_store_2addr_b64 v254, v[32:33], v[24:25] offset0:28 offset1:35
	v_add_f64_e32 v[32:33], v[16:17], v[164:165]
	v_add_f64_e64 v[24:25], v[58:59], -v[60:61]
	v_add_f64_e64 v[44:45], v[162:163], -v[191:192]
	s_delay_alu instid0(VALU_DEP_3)
	v_add_f64_e32 v[42:43], v[36:37], v[32:33]
	ds_store_b64 v254, v[24:25] offset:336
	v_and_b32_e32 v24, 0xffff, v137
	v_lshlrev_b32_e32 v25, 3, v139
	v_add_f64_e64 v[54:55], v[46:47], -v[44:45]
	v_add_f64_e32 v[50:51], v[46:47], v[44:45]
	v_add_f64_e64 v[46:47], v[48:49], -v[46:47]
	v_mul_u32_u24_e32 v24, 0x188, v24
	s_delay_alu instid0(VALU_DEP_1)
	v_add3_u32 v177, 0, v24, v25
	v_add_f64_e64 v[24:25], v[32:33], -v[40:41]
	v_add_f64_e64 v[32:33], v[36:37], -v[32:33]
	v_add_f64_e32 v[42:43], v[40:41], v[42:43]
	v_add_f64_e64 v[40:41], v[40:41], -v[36:37]
	v_mul_f64_e32 v[54:55], s[20:21], v[54:55]
	v_add_f64_e32 v[50:51], v[50:51], v[48:49]
	v_mul_f64_e32 v[24:25], s[16:17], v[24:25]
	v_add_f64_e32 v[34:35], v[34:35], v[42:43]
	v_mul_f64_e32 v[36:37], s[22:23], v[40:41]
	v_fma_f64 v[58:59], v[46:47], s[10:11], v[54:55]
	s_delay_alu instid0(VALU_DEP_4) | instskip(SKIP_4) | instid1(VALU_DEP_3)
	v_fma_f64 v[56:57], v[40:41], s[22:23], v[24:25]
	v_fma_f64 v[24:25], v[32:33], s[12:13], -v[24:25]
	v_fma_f64 v[42:43], v[42:43], s[18:19], v[34:35]
	v_fma_f64 v[36:37], v[32:33], s[14:15], -v[36:37]
	v_fma_f64 v[58:59], v[50:51], s[0:1], v[58:59]
	v_add_f64_e32 v[56:57], v[56:57], v[42:43]
	s_delay_alu instid0(VALU_DEP_3) | instskip(SKIP_1) | instid1(VALU_DEP_3)
	v_add_f64_e32 v[36:37], v[36:37], v[42:43]
	v_add_f64_e32 v[24:25], v[24:25], v[42:43]
	;; [unrolled: 1-line block ×3, first 2 shown]
	ds_store_2addr_b64 v177, v[34:35], v[60:61] offset1:7
	v_add_f64_e64 v[34:35], v[44:45], -v[48:49]
	s_delay_alu instid0(VALU_DEP_1) | instskip(SKIP_1) | instid1(VALU_DEP_2)
	v_mul_f64_e32 v[32:33], s[6:7], v[34:35]
	v_fma_f64 v[34:35], v[34:35], s[6:7], -v[54:55]
	v_fma_f64 v[32:33], v[46:47], s[2:3], -v[32:33]
	s_delay_alu instid0(VALU_DEP_2)
	v_fma_f64 v[34:35], v[50:51], s[0:1], v[34:35]
	v_add_f64_e64 v[46:47], v[166:167], -v[237:238]
	v_dual_mov_b32 v238, v185 :: v_dual_mov_b32 v237, v184
	scratch_load_b64 v[184:185], off, off offset:96 th:TH_LOAD_LU ; 8-byte Folded Reload
	v_fma_f64 v[32:33], v[50:51], s[0:1], v[32:33]
	v_add_f64_e64 v[42:43], v[36:37], -v[34:35]
	v_add_f64_e32 v[34:35], v[34:35], v[36:37]
	s_delay_alu instid0(VALU_DEP_3)
	v_add_f64_e32 v[40:41], v[32:33], v[24:25]
	v_add_f64_e64 v[24:25], v[24:25], -v[32:33]
	v_add_f64_e32 v[32:33], v[156:157], v[186:187]
	ds_store_2addr_b64 v177, v[40:41], v[42:43] offset0:14 offset1:21
	ds_store_2addr_b64 v177, v[34:35], v[24:25] offset0:28 offset1:35
	v_add_f64_e64 v[24:25], v[56:57], -v[58:59]
	v_add_f64_e32 v[34:35], v[235:236], v[233:234]
	v_add_f64_e64 v[42:43], v[110:111], -v[128:129]
	v_dual_mov_b32 v234, v109 :: v_dual_mov_b32 v233, v108
	v_dual_mov_b32 v108, v114 :: v_dual_mov_b32 v109, v115
	;; [unrolled: 1-line block ×3, first 2 shown]
	v_add_f64_e32 v[124:125], v[10:11], v[218:219]
	v_add_f64_e64 v[10:11], v[216:217], -v[12:13]
	ds_store_b64 v177, v[24:25] offset:336
	v_and_b32_e32 v24, 0xffff, v106
	v_lshlrev_b32_e32 v25, 3, v107
	scratch_load_b64 v[106:107], off, off offset:56 th:TH_LOAD_LU ; 8-byte Folded Reload
	v_mul_u32_u24_e32 v24, 0x188, v24
	s_delay_alu instid0(VALU_DEP_1) | instskip(SKIP_2) | instid1(VALU_DEP_1)
	v_add3_u32 v139, 0, v24, v25
	v_add_f64_e32 v[24:25], v[227:228], v[150:151]
	v_dual_mov_b32 v151, v31 :: v_dual_mov_b32 v150, v30
	v_add_f64_e64 v[44:45], v[220:221], -v[150:151]
	s_delay_alu instid0(VALU_DEP_3) | instskip(SKIP_2) | instid1(VALU_DEP_4)
	v_add_f64_e32 v[36:37], v[32:33], v[24:25]
	v_add_f64_e64 v[40:41], v[24:25], -v[34:35]
	v_add_f64_e64 v[24:25], v[32:33], -v[24:25]
	v_add_f64_e64 v[50:51], v[44:45], -v[42:43]
	v_add_f64_e32 v[48:49], v[44:45], v[42:43]
	v_add_f64_e64 v[44:45], v[46:47], -v[44:45]
	v_add_f64_e32 v[36:37], v[34:35], v[36:37]
	v_add_f64_e64 v[34:35], v[34:35], -v[32:33]
	v_mul_f64_e32 v[40:41], s[16:17], v[40:41]
	v_mul_f64_e32 v[50:51], s[20:21], v[50:51]
	v_add_f64_e32 v[48:49], v[48:49], v[46:47]
	v_add_f64_e32 v[28:29], v[168:169], v[36:37]
	scratch_load_b64 v[168:169], off, off offset:104 th:TH_LOAD_LU ; 8-byte Folded Reload
	v_fma_f64 v[54:55], v[34:35], s[22:23], v[40:41]
	v_mul_f64_e32 v[32:33], s[22:23], v[34:35]
	v_fma_f64 v[56:57], v[44:45], s[10:11], v[50:51]
	v_fma_f64 v[36:37], v[36:37], s[18:19], v[28:29]
	s_delay_alu instid0(VALU_DEP_3) | instskip(SKIP_1) | instid1(VALU_DEP_4)
	v_fma_f64 v[32:33], v[24:25], s[14:15], -v[32:33]
	v_fma_f64 v[24:25], v[24:25], s[12:13], -v[40:41]
	v_fma_f64 v[56:57], v[48:49], s[0:1], v[56:57]
	s_delay_alu instid0(VALU_DEP_4) | instskip(NEXT) | instid1(VALU_DEP_4)
	v_add_f64_e32 v[54:55], v[54:55], v[36:37]
	v_add_f64_e32 v[32:33], v[32:33], v[36:37]
	s_delay_alu instid0(VALU_DEP_4) | instskip(NEXT) | instid1(VALU_DEP_3)
	v_add_f64_e32 v[24:25], v[24:25], v[36:37]
	v_add_f64_e32 v[58:59], v[56:57], v[54:55]
	ds_store_2addr_b64 v139, v[28:29], v[58:59] offset1:7
	v_add_f64_e64 v[28:29], v[42:43], -v[46:47]
	s_delay_alu instid0(VALU_DEP_1) | instskip(SKIP_1) | instid1(VALU_DEP_2)
	v_mul_f64_e32 v[34:35], s[6:7], v[28:29]
	v_fma_f64 v[28:29], v[28:29], s[6:7], -v[50:51]
	v_fma_f64 v[34:35], v[44:45], s[2:3], -v[34:35]
	s_delay_alu instid0(VALU_DEP_2) | instskip(SKIP_1) | instid1(VALU_DEP_3)
	v_fma_f64 v[28:29], v[48:49], s[0:1], v[28:29]
	v_add_f64_e64 v[44:45], v[197:198], -v[142:143]
	v_fma_f64 v[34:35], v[48:49], s[0:1], v[34:35]
	s_delay_alu instid0(VALU_DEP_3)
	v_add_f64_e64 v[40:41], v[32:33], -v[28:29]
	v_add_f64_e32 v[28:29], v[28:29], v[32:33]
	v_add_f64_e32 v[32:33], v[237:238], v[130:131]
	v_dual_mov_b32 v131, v91 :: v_dual_mov_b32 v130, v90
	v_add_f64_e32 v[36:37], v[34:35], v[24:25]
	v_add_f64_e64 v[24:25], v[24:25], -v[34:35]
	v_add_f64_e32 v[34:35], v[222:223], v[239:240]
	ds_store_2addr_b64 v139, v[36:37], v[40:41] offset0:14 offset1:21
	ds_store_2addr_b64 v139, v[28:29], v[24:25] offset0:28 offset1:35
	v_add_f64_e32 v[28:29], v[229:230], v[233:234]
	v_add_f64_e64 v[24:25], v[54:55], -v[56:57]
	s_wait_loadcnt 0x0
	v_add_f64_e64 v[40:41], v[168:169], -v[246:247]
	v_dual_mov_b32 v247, v7 :: v_dual_mov_b32 v246, v6
	s_delay_alu instid0(VALU_DEP_4) | instskip(SKIP_2) | instid1(VALU_DEP_1)
	v_add_f64_e32 v[36:37], v[32:33], v[28:29]
	ds_store_b64 v139, v[24:25] offset:336
	v_and_b32_e32 v24, 0xffff, v88
	v_mul_u32_u24_e32 v24, 0x188, v24
	v_add_f64_e32 v[36:37], v[34:35], v[36:37]
	s_delay_alu instid0(VALU_DEP_1) | instskip(SKIP_3) | instid1(VALU_DEP_3)
	v_add_f64_e32 v[30:31], v[170:171], v[36:37]
	v_dual_mov_b32 v170, v188 :: v_dual_mov_b32 v171, v189
	v_lshlrev_b32_e32 v25, 3, v89
	v_dual_mov_b32 v189, v74 :: v_dual_mov_b32 v188, v73
	v_add_f64_e64 v[42:43], v[170:171], -v[158:159]
	s_delay_alu instid0(VALU_DEP_3)
	v_add3_u32 v178, 0, v24, v25
	v_add_f64_e64 v[24:25], v[28:29], -v[34:35]
	v_add_f64_e64 v[34:35], v[34:35], -v[32:33]
	v_add_f64_e64 v[28:29], v[32:33], -v[28:29]
	v_dual_mov_b32 v159, v95 :: v_dual_mov_b32 v158, v94
	v_fma_f64 v[36:37], v[36:37], s[18:19], v[30:31]
	v_add_f64_e64 v[48:49], v[42:43], -v[40:41]
	v_add_f64_e32 v[46:47], v[42:43], v[40:41]
	v_mul_f64_e32 v[24:25], s[16:17], v[24:25]
	v_add_f64_e64 v[42:43], v[44:45], -v[42:43]
	v_mul_f64_e32 v[32:33], s[22:23], v[34:35]
	v_mul_f64_e32 v[48:49], s[20:21], v[48:49]
	v_add_f64_e32 v[46:47], v[46:47], v[44:45]
	v_fma_f64 v[50:51], v[34:35], s[22:23], v[24:25]
	v_fma_f64 v[24:25], v[28:29], s[12:13], -v[24:25]
	v_fma_f64 v[32:33], v[28:29], s[14:15], -v[32:33]
	v_fma_f64 v[54:55], v[42:43], s[10:11], v[48:49]
	s_delay_alu instid0(VALU_DEP_4) | instskip(NEXT) | instid1(VALU_DEP_4)
	v_add_f64_e32 v[50:51], v[50:51], v[36:37]
	v_add_f64_e32 v[24:25], v[24:25], v[36:37]
	s_delay_alu instid0(VALU_DEP_4) | instskip(NEXT) | instid1(VALU_DEP_4)
	v_add_f64_e32 v[32:33], v[32:33], v[36:37]
	v_fma_f64 v[54:55], v[46:47], s[0:1], v[54:55]
	s_delay_alu instid0(VALU_DEP_1)
	v_add_f64_e32 v[56:57], v[54:55], v[50:51]
	ds_store_2addr_b64 v178, v[30:31], v[56:57] offset1:7
	v_add_f64_e64 v[30:31], v[40:41], -v[44:45]
	scratch_load_b128 v[56:59], off, off offset:40 th:TH_LOAD_LU ; 16-byte Folded Reload
	v_add_f64_e64 v[40:41], v[160:161], -v[108:109]
	scratch_load_b64 v[160:161], off, off offset:72 th:TH_LOAD_LU ; 8-byte Folded Reload
	v_mul_f64_e32 v[28:29], s[6:7], v[30:31]
	v_fma_f64 v[30:31], v[30:31], s[6:7], -v[48:49]
	s_delay_alu instid0(VALU_DEP_2) | instskip(NEXT) | instid1(VALU_DEP_2)
	v_fma_f64 v[28:29], v[42:43], s[2:3], -v[28:29]
	v_fma_f64 v[30:31], v[46:47], s[0:1], v[30:31]
	v_add_f64_e64 v[42:43], v[184:185], -v[248:249]
	v_dual_mov_b32 v249, v127 :: v_dual_mov_b32 v248, v126
	s_delay_alu instid0(VALU_DEP_4) | instskip(NEXT) | instid1(VALU_DEP_4)
	v_fma_f64 v[28:29], v[46:47], s[0:1], v[28:29]
	v_add_f64_e64 v[36:37], v[32:33], -v[30:31]
	v_add_f64_e32 v[30:31], v[30:31], v[32:33]
	s_delay_alu instid0(VALU_DEP_3)
	v_add_f64_e32 v[34:35], v[28:29], v[24:25]
	v_add_f64_e64 v[24:25], v[24:25], -v[28:29]
	v_add_f64_e32 v[28:29], v[195:196], v[140:141]
	ds_store_2addr_b64 v178, v[34:35], v[36:37] offset0:14 offset1:21
	ds_store_2addr_b64 v178, v[30:31], v[24:25] offset0:28 offset1:35
	v_add_f64_e64 v[24:25], v[50:51], -v[54:55]
	v_add_f64_e32 v[30:31], v[174:175], v[224:225]
	v_add_f64_e64 v[36:37], v[208:209], -v[193:194]
	ds_store_b64 v178, v[24:25] offset:336
	v_and_b32_e32 v24, 0xffff, v76
	v_lshlrev_b32_e32 v25, 3, v77
	v_add_f64_e64 v[46:47], v[40:41], -v[36:37]
	v_add_f64_e32 v[44:45], v[40:41], v[36:37]
	v_add_f64_e64 v[40:41], v[42:43], -v[40:41]
	v_mul_u32_u24_e32 v24, 0x188, v24
	s_delay_alu instid0(VALU_DEP_1) | instskip(SKIP_3) | instid1(VALU_DEP_3)
	v_add3_u32 v179, 0, v24, v25
	v_add_f64_e32 v[24:25], v[112:113], v[241:242]
	v_mul_f64_e32 v[46:47], s[20:21], v[46:47]
	v_add_f64_e32 v[44:45], v[44:45], v[42:43]
	v_add_f64_e32 v[32:33], v[28:29], v[24:25]
	v_add_f64_e64 v[34:35], v[24:25], -v[30:31]
	v_add_f64_e64 v[24:25], v[28:29], -v[24:25]
	v_fma_f64 v[54:55], v[40:41], s[10:11], v[46:47]
	s_delay_alu instid0(VALU_DEP_4)
	v_add_f64_e32 v[32:33], v[30:31], v[32:33]
	v_add_f64_e64 v[30:31], v[30:31], -v[28:29]
	v_mul_f64_e32 v[34:35], s[16:17], v[34:35]
	v_add_f64_e64 v[28:29], v[36:37], -v[42:43]
	v_add_f64_e64 v[42:43], v[122:123], -v[244:245]
	v_dual_mov_b32 v245, v133 :: v_dual_mov_b32 v244, v132
	v_fma_f64 v[54:55], v[44:45], s[0:1], v[54:55]
	s_wait_loadcnt 0x1
	v_add_f64_e32 v[48:49], v[56:57], v[32:33]
	v_fma_f64 v[50:51], v[30:31], s[22:23], v[34:35]
	v_mul_f64_e32 v[30:31], s[22:23], v[30:31]
	s_delay_alu instid0(VALU_DEP_3) | instskip(NEXT) | instid1(VALU_DEP_2)
	v_fma_f64 v[32:33], v[32:33], s[18:19], v[48:49]
	v_fma_f64 v[30:31], v[24:25], s[14:15], -v[30:31]
	v_fma_f64 v[24:25], v[24:25], s[12:13], -v[34:35]
	v_mul_f64_e32 v[34:35], s[6:7], v[28:29]
	v_fma_f64 v[28:29], v[28:29], s[6:7], -v[46:47]
	v_add_f64_e32 v[50:51], v[50:51], v[32:33]
	v_add_f64_e32 v[30:31], v[30:31], v[32:33]
	;; [unrolled: 1-line block ×3, first 2 shown]
	v_fma_f64 v[34:35], v[40:41], s[2:3], -v[34:35]
	v_fma_f64 v[28:29], v[44:45], s[0:1], v[28:29]
	s_wait_loadcnt 0x0
	v_add_f64_e64 v[40:41], v[160:161], -v[252:253]
	v_add_f64_e32 v[56:57], v[54:55], v[50:51]
	s_delay_alu instid0(VALU_DEP_4) | instskip(NEXT) | instid1(VALU_DEP_4)
	v_fma_f64 v[32:33], v[44:45], s[0:1], v[34:35]
	v_add_f64_e64 v[36:37], v[30:31], -v[28:29]
	v_add_f64_e32 v[28:29], v[28:29], v[30:31]
	v_add_f64_e32 v[30:31], v[158:159], v[250:251]
	v_add_f64_e64 v[44:45], v[114:115], -v[204:205]
	v_add_f64_e32 v[46:47], v[42:43], v[40:41]
	v_dual_mov_b32 v251, v81 :: v_dual_mov_b32 v250, v80
	ds_store_2addr_b64 v179, v[48:49], v[56:57] offset1:7
	v_add_f64_e64 v[48:49], v[42:43], -v[40:41]
	v_add_f64_e32 v[34:35], v[32:33], v[24:25]
	v_add_f64_e64 v[24:25], v[24:25], -v[32:33]
	v_add_f64_e32 v[32:33], v[18:19], v[130:131]
	v_mov_b32_e32 v18, v71
	v_add_f64_e64 v[42:43], v[44:45], -v[42:43]
	v_add_f64_e32 v[46:47], v[46:47], v[44:45]
	v_mov_b32_e32 v19, v72
	v_mul_f64_e32 v[48:49], s[20:21], v[48:49]
	ds_store_2addr_b64 v179, v[34:35], v[36:37] offset0:14 offset1:21
	ds_store_2addr_b64 v179, v[28:29], v[24:25] offset0:28 offset1:35
	v_add_f64_e64 v[24:25], v[50:51], -v[54:55]
	v_add_f64_e32 v[28:29], v[206:207], v[152:153]
	v_fma_f64 v[54:55], v[42:43], s[10:11], v[48:49]
	ds_store_b64 v179, v[24:25] offset:336
	v_and_b32_e32 v24, 0xffff, v64
	v_lshlrev_b32_e32 v25, 3, v65
	v_add_f64_e32 v[34:35], v[30:31], v[28:29]
	s_delay_alu instid0(VALU_DEP_3) | instskip(NEXT) | instid1(VALU_DEP_1)
	v_mul_u32_u24_e32 v24, 0x188, v24
	v_add3_u32 v181, 0, v24, v25
	v_add_f64_e64 v[24:25], v[28:29], -v[32:33]
	v_add_f64_e64 v[28:29], v[30:31], -v[28:29]
	v_fma_f64 v[54:55], v[46:47], s[0:1], v[54:55]
	v_add_f64_e32 v[34:35], v[32:33], v[34:35]
	v_add_f64_e64 v[32:33], v[32:33], -v[30:31]
	v_add_f64_e64 v[30:31], v[40:41], -v[44:45]
	;; [unrolled: 1-line block ×3, first 2 shown]
	v_add_f64_e32 v[126:127], v[182:183], v[38:39]
	v_add_f64_e64 v[182:183], v[86:87], -v[26:27]
	v_mul_f64_e32 v[24:25], s[16:17], v[24:25]
	v_add_f64_e32 v[36:37], v[58:59], v[34:35]
	s_delay_alu instid0(VALU_DEP_3) | instskip(NEXT) | instid1(VALU_DEP_3)
	v_add_f64_e64 v[12:13], v[10:11], -v[182:183]
	v_fma_f64 v[50:51], v[32:33], s[22:23], v[24:25]
	v_mul_f64_e32 v[32:33], s[22:23], v[32:33]
	v_fma_f64 v[24:25], v[28:29], s[12:13], -v[24:25]
	v_fma_f64 v[34:35], v[34:35], s[18:19], v[36:37]
	v_mul_f64_e32 v[221:222], s[20:21], v[12:13]
	v_dual_mov_b32 v12, v190 :: v_dual_add_nc_u32 v13, 0x3800, v255
	v_fma_f64 v[32:33], v[28:29], s[14:15], -v[32:33]
	v_mul_f64_e32 v[28:29], s[6:7], v[30:31]
	v_fma_f64 v[30:31], v[30:31], s[6:7], -v[48:49]
	v_add_f64_e32 v[50:51], v[50:51], v[34:35]
	v_add_f64_e32 v[24:25], v[24:25], v[34:35]
	;; [unrolled: 1-line block ×3, first 2 shown]
	v_fma_f64 v[28:29], v[42:43], s[2:3], -v[28:29]
	v_fma_f64 v[30:31], v[46:47], s[0:1], v[30:31]
	v_add_f64_e64 v[42:43], v[106:107], -v[132:133]
	v_add_f64_e64 v[132:133], v[68:69], -v[22:23]
	v_add_f64_e32 v[56:57], v[54:55], v[50:51]
	v_fma_f64 v[28:29], v[46:47], s[0:1], v[28:29]
	ds_store_2addr_b64 v181, v[36:37], v[56:57] offset1:7
	v_add_f64_e64 v[36:37], v[32:33], -v[30:31]
	v_add_f64_e32 v[30:31], v[30:31], v[32:33]
	v_add_f64_e32 v[32:33], v[78:79], v[213:214]
	v_add_f64_e32 v[34:35], v[28:29], v[24:25]
	v_add_f64_e64 v[24:25], v[24:25], -v[28:29]
	v_add_f64_e32 v[28:29], v[18:19], v[52:53]
	ds_store_2addr_b64 v181, v[34:35], v[36:37] offset0:14 offset1:21
	ds_store_2addr_b64 v181, v[30:31], v[24:25] offset0:28 offset1:35
	v_add_f64_e32 v[30:31], v[82:83], v[4:5]
	v_add_f64_e64 v[24:25], v[50:51], -v[54:55]
	v_add_f64_e64 v[36:37], v[188:189], -v[6:7]
	v_add_f64_e32 v[4:5], v[20:21], v[200:201]
	v_add_f64_e32 v[6:7], v[126:127], v[124:125]
	v_add_f64_e32 v[34:35], v[30:31], v[28:29]
	ds_store_b64 v181, v[24:25] offset:336
	v_and_b32_e32 v24, 0xffff, v75
	v_lshlrev_b32_e32 v25, 3, v215
	v_add_f64_e64 v[46:47], v[40:41], -v[36:37]
	v_add_f64_e32 v[44:45], v[40:41], v[36:37]
	v_add_f64_e64 v[40:41], v[42:43], -v[40:41]
	v_mul_u32_u24_e32 v24, 0x188, v24
	v_add_f64_e32 v[6:7], v[4:5], v[6:7]
	v_add_f64_e64 v[213:214], v[4:5], -v[126:127]
	v_add_f64_e64 v[215:216], v[132:133], -v[10:11]
	s_delay_alu instid0(VALU_DEP_4)
	v_add3_u32 v180, 0, v24, v25
	v_add_f64_e64 v[24:25], v[28:29], -v[32:33]
	v_add_f64_e32 v[34:35], v[32:33], v[34:35]
	v_add_f64_e64 v[32:33], v[32:33], -v[30:31]
	v_mul_f64_e32 v[46:47], s[20:21], v[46:47]
	v_add_f64_e32 v[44:45], v[44:45], v[42:43]
	v_add_f64_e32 v[0:1], v[0:1], v[6:7]
	v_mul_f64_e32 v[24:25], s[16:17], v[24:25]
	v_add_f64_e32 v[8:9], v[8:9], v[34:35]
	v_fma_f64 v[50:51], v[40:41], s[10:11], v[46:47]
	s_delay_alu instid0(VALU_DEP_4) | instskip(NEXT) | instid1(VALU_DEP_4)
	v_fma_f64 v[137:138], v[6:7], s[18:19], v[0:1]
	v_fma_f64 v[48:49], v[32:33], s[22:23], v[24:25]
	s_delay_alu instid0(VALU_DEP_4) | instskip(NEXT) | instid1(VALU_DEP_4)
	v_fma_f64 v[34:35], v[34:35], s[18:19], v[8:9]
	v_fma_f64 v[50:51], v[44:45], s[0:1], v[50:51]
	s_delay_alu instid0(VALU_DEP_2) | instskip(NEXT) | instid1(VALU_DEP_1)
	v_add_f64_e32 v[48:49], v[48:49], v[34:35]
	v_add_f64_e32 v[52:53], v[50:51], v[48:49]
	ds_store_2addr_b64 v180, v[8:9], v[52:53] offset1:7
	v_add_f64_e64 v[8:9], v[30:31], -v[28:29]
	v_add_f64_e64 v[28:29], v[36:37], -v[42:43]
	v_mul_f64_e32 v[30:31], s[22:23], v[32:33]
	s_delay_alu instid0(VALU_DEP_1) | instskip(SKIP_1) | instid1(VALU_DEP_4)
	v_fma_f64 v[30:31], v[8:9], s[14:15], -v[30:31]
	v_fma_f64 v[8:9], v[8:9], s[12:13], -v[24:25]
	v_mul_f64_e32 v[24:25], s[6:7], v[28:29]
	v_fma_f64 v[28:29], v[28:29], s[6:7], -v[46:47]
	s_delay_alu instid0(VALU_DEP_4) | instskip(NEXT) | instid1(VALU_DEP_4)
	v_add_f64_e32 v[30:31], v[30:31], v[34:35]
	v_add_f64_e32 v[8:9], v[8:9], v[34:35]
	s_delay_alu instid0(VALU_DEP_4) | instskip(NEXT) | instid1(VALU_DEP_4)
	v_fma_f64 v[24:25], v[40:41], s[2:3], -v[24:25]
	v_fma_f64 v[28:29], v[44:45], s[0:1], v[28:29]
	s_delay_alu instid0(VALU_DEP_2) | instskip(NEXT) | instid1(VALU_DEP_2)
	v_fma_f64 v[24:25], v[44:45], s[0:1], v[24:25]
	v_add_f64_e64 v[34:35], v[30:31], -v[28:29]
	v_add_f64_e32 v[28:29], v[28:29], v[30:31]
	s_delay_alu instid0(VALU_DEP_3)
	v_add_f64_e32 v[32:33], v[24:25], v[8:9]
	v_add_f64_e64 v[8:9], v[8:9], -v[24:25]
	ds_store_2addr_b64 v180, v[32:33], v[34:35] offset0:14 offset1:21
	ds_store_2addr_b64 v180, v[28:29], v[8:9] offset0:28 offset1:35
	v_add_f64_e64 v[8:9], v[48:49], -v[50:51]
	ds_store_b64 v180, v[8:9] offset:336
	v_add_f64_e64 v[8:9], v[124:125], -v[4:5]
	v_add_f64_e32 v[4:5], v[10:11], v[182:183]
	global_wb scope:SCOPE_SE
	s_wait_dscnt 0x0
	s_barrier_signal -1
	s_barrier_wait -1
	global_inv scope:SCOPE_SE
	v_mul_f64_e32 v[219:220], s[16:17], v[8:9]
	v_add_f64_e32 v[217:218], v[4:5], v[132:133]
	s_delay_alu instid0(VALU_DEP_2) | instskip(NEXT) | instid1(VALU_DEP_1)
	v_fma_f64 v[4:5], v[213:214], s[22:23], v[219:220]
	v_add_f64_e32 v[223:224], v[4:5], v[137:138]
	v_fma_f64 v[4:5], v[215:216], s[10:11], v[221:222]
	s_delay_alu instid0(VALU_DEP_1)
	v_fma_f64 v[225:226], v[217:218], s[0:1], v[4:5]
	ds_load_b64 v[241:242], v255 offset:18816
	ds_load_2addr_b64 v[4:7], v255 offset1:49
	s_wait_dscnt 0x0
	scratch_store_b128 off, v[4:7], off offset:128 ; 16-byte Folded Spill
	ds_load_2addr_b64 v[4:7], v243 offset0:38 offset1:87
	s_wait_dscnt 0x0
	scratch_store_b128 off, v[4:7], off offset:144 ; 16-byte Folded Spill
	v_add_nc_u32_e32 v5, 0x2800, v255
	ds_load_2addr_b64 v[94:97], v147 offset0:174 offset1:223
	ds_load_2addr_b64 v[32:35], v67 offset0:84 offset1:133
	v_mov_b32_e32 v4, v70
	ds_load_2addr_b64 v[90:93], v5 offset0:92 offset1:141
	ds_load_2addr_b64 v[20:23], v70 offset0:130 offset1:179
	;; [unrolled: 1-line block ×7, first 2 shown]
	s_wait_dscnt 0x0
	scratch_store_b128 off, v[6:9], off offset:80 ; 16-byte Folded Spill
	ds_load_2addr_b64 v[80:83], v190 offset0:16 offset1:65
	ds_load_2addr_b64 v[76:79], v5 offset0:190 offset1:239
	;; [unrolled: 1-line block ×7, first 2 shown]
	v_dual_mov_b32 v6, v5 :: v_dual_mov_b32 v203, v146
	s_wait_dscnt 0x0
	scratch_store_b128 off, v[7:10], off offset:40 ; 16-byte Folded Spill
	ds_load_2addr_b64 v[56:59], v190 offset0:114 offset1:163
	ds_load_2addr_b64 v[52:55], v4 offset0:32 offset1:81
	;; [unrolled: 1-line block ×6, first 2 shown]
	v_add_f64_e64 v[144:145], v[223:224], -v[225:226]
	global_wb scope:SCOPE_SE
	s_wait_storecnt_dscnt 0x0
	s_barrier_signal -1
	s_barrier_wait -1
	global_inv scope:SCOPE_SE
	scratch_load_b64 v[4:5], off, off offset:168 th:TH_LOAD_LU ; 8-byte Folded Reload
	v_mov_b32_e32 v190, v147
	ds_store_2addr_b64 v254, v[0:1], v[144:145] offset1:7
	v_add_f64_e64 v[0:1], v[126:127], -v[124:125]
	v_add_f64_e64 v[124:125], v[182:183], -v[132:133]
	v_mul_f64_e32 v[126:127], s[22:23], v[213:214]
	s_delay_alu instid0(VALU_DEP_2) | instskip(NEXT) | instid1(VALU_DEP_2)
	v_mul_f64_e32 v[132:133], s[6:7], v[124:125]
	v_fma_f64 v[126:127], v[0:1], s[14:15], -v[126:127]
	v_fma_f64 v[0:1], v[0:1], s[12:13], -v[219:220]
	;; [unrolled: 1-line block ×3, first 2 shown]
	s_delay_alu instid0(VALU_DEP_4) | instskip(NEXT) | instid1(VALU_DEP_4)
	v_fma_f64 v[132:133], v[215:216], s[2:3], -v[132:133]
	v_add_f64_e32 v[126:127], v[126:127], v[137:138]
	s_delay_alu instid0(VALU_DEP_4) | instskip(NEXT) | instid1(VALU_DEP_4)
	v_add_f64_e32 v[0:1], v[0:1], v[137:138]
	v_fma_f64 v[124:125], v[217:218], s[0:1], v[124:125]
	s_delay_alu instid0(VALU_DEP_4) | instskip(NEXT) | instid1(VALU_DEP_2)
	v_fma_f64 v[132:133], v[217:218], s[0:1], v[132:133]
	v_add_f64_e32 v[144:145], v[124:125], v[126:127]
	v_add_f64_e64 v[124:125], v[126:127], -v[124:125]
	v_add_f64_e64 v[126:127], v[16:17], -v[164:165]
	s_delay_alu instid0(VALU_DEP_4)
	v_add_f64_e64 v[137:138], v[0:1], -v[132:133]
	v_add_f64_e32 v[0:1], v[132:133], v[0:1]
	v_add_f64_e64 v[132:133], v[154:155], -v[120:121]
	ds_store_2addr_b64 v254, v[137:138], v[144:145] offset0:14 offset1:21
	ds_store_2addr_b64 v254, v[124:125], v[0:1] offset0:28 offset1:35
	v_add_f64_e32 v[0:1], v[225:226], v[223:224]
	v_add_f64_e32 v[124:125], v[162:163], v[191:192]
	;; [unrolled: 1-line block ×3, first 2 shown]
	v_add_f64_e64 v[144:145], v[134:135], -v[231:232]
	v_mov_b32_e32 v15, v6
	v_add_nc_u32_e32 v231, 0x800, v255
	ds_store_b64 v254, v[0:1] offset:336
	v_add_f64_e32 v[0:1], v[172:173], v[210:211]
	v_add_f64_e64 v[215:216], v[144:145], -v[132:133]
	v_add_f64_e32 v[213:214], v[144:145], v[132:133]
	v_add_f64_e64 v[144:145], v[126:127], -v[144:145]
	s_delay_alu instid0(VALU_DEP_4)
	v_add_f64_e32 v[182:183], v[124:125], v[0:1]
	v_add_f64_e64 v[200:201], v[0:1], -v[137:138]
	v_mul_f64_e32 v[215:216], s[20:21], v[215:216]
	v_add_f64_e32 v[213:214], v[213:214], v[126:127]
	v_add_f64_e64 v[0:1], v[124:125], -v[0:1]
	s_wait_loadcnt 0x0
	v_add_f64_e64 v[120:121], v[227:228], -v[4:5]
	scratch_load_b64 v[4:5], off, off offset:176 th:TH_LOAD_LU ; 8-byte Folded Reload
	v_add_f64_e32 v[182:183], v[137:138], v[182:183]
	v_add_f64_e64 v[137:138], v[137:138], -v[124:125]
	v_mul_f64_e32 v[200:201], s[16:17], v[200:201]
	v_fma_f64 v[219:220], v[144:145], s[10:11], v[215:216]
	s_delay_alu instid0(VALU_DEP_4) | instskip(NEXT) | instid1(VALU_DEP_4)
	v_add_f64_e32 v[2:3], v[2:3], v[182:183]
	v_mul_f64_e32 v[124:125], s[22:23], v[137:138]
	s_delay_alu instid0(VALU_DEP_4) | instskip(NEXT) | instid1(VALU_DEP_4)
	v_fma_f64 v[217:218], v[137:138], s[22:23], v[200:201]
	v_fma_f64 v[219:220], v[213:214], s[0:1], v[219:220]
	s_delay_alu instid0(VALU_DEP_4) | instskip(NEXT) | instid1(VALU_DEP_4)
	v_fma_f64 v[182:183], v[182:183], s[18:19], v[2:3]
	v_fma_f64 v[124:125], v[0:1], s[14:15], -v[124:125]
	v_fma_f64 v[0:1], v[0:1], s[12:13], -v[200:201]
	s_delay_alu instid0(VALU_DEP_3) | instskip(NEXT) | instid1(VALU_DEP_3)
	v_add_f64_e32 v[217:218], v[217:218], v[182:183]
	v_add_f64_e32 v[124:125], v[124:125], v[182:183]
	s_delay_alu instid0(VALU_DEP_3) | instskip(NEXT) | instid1(VALU_DEP_3)
	v_add_f64_e32 v[0:1], v[0:1], v[182:183]
	v_add_f64_e64 v[221:222], v[217:218], -v[219:220]
	ds_store_2addr_b64 v177, v[2:3], v[221:222] offset1:7
	v_add_f64_e64 v[2:3], v[132:133], -v[126:127]
	s_delay_alu instid0(VALU_DEP_1) | instskip(SKIP_1) | instid1(VALU_DEP_2)
	v_fma_f64 v[126:127], v[2:3], s[6:7], -v[215:216]
	v_mul_f64_e32 v[2:3], s[6:7], v[2:3]
	v_fma_f64 v[126:127], v[213:214], s[0:1], v[126:127]
	s_delay_alu instid0(VALU_DEP_2) | instskip(NEXT) | instid1(VALU_DEP_2)
	v_fma_f64 v[2:3], v[144:145], s[2:3], -v[2:3]
	v_add_f64_e32 v[132:133], v[126:127], v[124:125]
	v_add_f64_e64 v[124:125], v[124:125], -v[126:127]
	s_wait_loadcnt 0x0
	v_add_f64_e32 v[126:127], v[150:151], v[4:5]
	scratch_load_b64 v[4:5], off, off offset:160 th:TH_LOAD_LU ; 8-byte Folded Reload
	v_fma_f64 v[2:3], v[213:214], s[0:1], v[2:3]
	s_delay_alu instid0(VALU_DEP_1)
	v_add_f64_e64 v[137:138], v[0:1], -v[2:3]
	v_add_f64_e32 v[0:1], v[2:3], v[0:1]
	v_add_f64_e32 v[2:3], v[110:111], v[128:129]
	ds_store_2addr_b64 v177, v[137:138], v[132:133] offset0:14 offset1:21
	ds_store_2addr_b64 v177, v[124:125], v[0:1] offset0:28 offset1:35
	v_add_f64_e32 v[0:1], v[219:220], v[217:218]
	v_add_f64_e64 v[124:125], v[156:157], -v[186:187]
	ds_store_b64 v177, v[0:1] offset:336
	scratch_load_b64 v[0:1], off, off offset:288 th:TH_LOAD_LU ; 8-byte Folded Reload
	s_wait_loadcnt 0x1
	v_add_f64_e64 v[132:133], v[4:5], -v[235:236]
	scratch_load_b64 v[4:5], off, off offset:120 th:TH_LOAD_LU ; 8-byte Folded Reload
	v_add_f64_e64 v[150:151], v[132:133], -v[124:125]
	v_add_f64_e32 v[146:147], v[132:133], v[124:125]
	v_add_f64_e64 v[132:133], v[120:121], -v[132:133]
	s_delay_alu instid0(VALU_DEP_3) | instskip(NEXT) | instid1(VALU_DEP_3)
	v_mul_f64_e32 v[150:151], s[20:21], v[150:151]
	v_add_f64_e32 v[146:147], v[146:147], v[120:121]
	s_delay_alu instid0(VALU_DEP_2) | instskip(SKIP_2) | instid1(VALU_DEP_2)
	v_fma_f64 v[162:163], v[132:133], s[10:11], v[150:151]
	s_wait_loadcnt 0x1
	v_add_f64_e32 v[0:1], v[166:167], v[0:1]
	v_fma_f64 v[162:163], v[146:147], s[0:1], v[162:163]
	s_delay_alu instid0(VALU_DEP_2) | instskip(SKIP_2) | instid1(VALU_DEP_3)
	v_add_f64_e32 v[137:138], v[2:3], v[0:1]
	v_add_f64_e64 v[144:145], v[0:1], -v[126:127]
	v_add_f64_e64 v[0:1], v[2:3], -v[0:1]
	v_add_f64_e32 v[137:138], v[126:127], v[137:138]
	v_add_f64_e64 v[126:127], v[126:127], -v[2:3]
	s_delay_alu instid0(VALU_DEP_4) | instskip(SKIP_1) | instid1(VALU_DEP_4)
	v_mul_f64_e32 v[144:145], s[16:17], v[144:145]
	v_add_f64_e64 v[2:3], v[124:125], -v[120:121]
	v_add_f64_e32 v[102:103], v[102:103], v[137:138]
	s_delay_alu instid0(VALU_DEP_3) | instskip(NEXT) | instid1(VALU_DEP_3)
	v_fma_f64 v[154:155], v[126:127], s[22:23], v[144:145]
	v_fma_f64 v[120:121], v[2:3], s[6:7], -v[150:151]
	v_mul_f64_e32 v[2:3], s[6:7], v[2:3]
	s_delay_alu instid0(VALU_DEP_4) | instskip(NEXT) | instid1(VALU_DEP_3)
	v_fma_f64 v[137:138], v[137:138], s[18:19], v[102:103]
	v_fma_f64 v[120:121], v[146:147], s[0:1], v[120:121]
	s_delay_alu instid0(VALU_DEP_3) | instskip(NEXT) | instid1(VALU_DEP_3)
	v_fma_f64 v[2:3], v[132:133], s[2:3], -v[2:3]
	v_add_f64_e32 v[154:155], v[154:155], v[137:138]
	s_delay_alu instid0(VALU_DEP_2)
	v_fma_f64 v[2:3], v[146:147], s[0:1], v[2:3]
	s_wait_loadcnt 0x0
	v_add_f64_e64 v[110:111], v[237:238], -v[4:5]
	scratch_load_b64 v[4:5], off, off offset:304 th:TH_LOAD_LU ; 8-byte Folded Reload
	v_add_f64_e64 v[182:183], v[154:155], -v[162:163]
	ds_store_2addr_b64 v139, v[102:103], v[182:183] offset1:7
	v_mul_f64_e32 v[102:103], s[22:23], v[126:127]
	s_delay_alu instid0(VALU_DEP_1) | instskip(SKIP_1) | instid1(VALU_DEP_2)
	v_fma_f64 v[102:103], v[0:1], s[14:15], -v[102:103]
	v_fma_f64 v[0:1], v[0:1], s[12:13], -v[144:145]
	v_add_f64_e32 v[102:103], v[102:103], v[137:138]
	s_delay_alu instid0(VALU_DEP_2) | instskip(NEXT) | instid1(VALU_DEP_2)
	v_add_f64_e32 v[0:1], v[0:1], v[137:138]
	v_add_f64_e32 v[124:125], v[120:121], v[102:103]
	s_delay_alu instid0(VALU_DEP_2)
	v_add_f64_e64 v[126:127], v[0:1], -v[2:3]
	v_add_f64_e32 v[0:1], v[2:3], v[0:1]
	scratch_load_b64 v[2:3], off, off offset:336 th:TH_LOAD_LU ; 8-byte Folded Reload
	v_add_f64_e64 v[102:103], v[102:103], -v[120:121]
	ds_store_2addr_b64 v139, v[126:127], v[124:125] offset0:14 offset1:21
	ds_store_2addr_b64 v139, v[102:103], v[0:1] offset0:28 offset1:35
	v_add_f64_e32 v[0:1], v[162:163], v[154:155]
	v_add_f64_e64 v[102:103], v[229:230], -v[233:234]
	ds_store_b64 v139, v[0:1] offset:336
	v_add_f64_e32 v[0:1], v[197:198], v[142:143]
	s_wait_loadcnt 0x1
	v_add_f64_e32 v[120:121], v[4:5], v[170:171]
	scratch_load_b64 v[4:5], off, off offset:112 th:TH_LOAD_LU ; 8-byte Folded Reload
	v_add_f64_e64 v[128:129], v[0:1], -v[120:121]
	s_delay_alu instid0(VALU_DEP_1) | instskip(SKIP_2) | instid1(VALU_DEP_1)
	v_mul_f64_e32 v[128:129], s[16:17], v[128:129]
	s_wait_loadcnt 0x1
	v_add_f64_e32 v[2:3], v[168:169], v[2:3]
	v_add_f64_e32 v[126:127], v[2:3], v[0:1]
	v_add_f64_e64 v[0:1], v[2:3], -v[0:1]
	s_delay_alu instid0(VALU_DEP_2) | instskip(SKIP_2) | instid1(VALU_DEP_3)
	v_add_f64_e32 v[126:127], v[120:121], v[126:127]
	v_add_f64_e64 v[120:121], v[120:121], -v[2:3]
	v_add_f64_e64 v[2:3], v[110:111], -v[102:103]
	v_add_f64_e32 v[104:105], v[104:105], v[126:127]
	s_delay_alu instid0(VALU_DEP_3)
	v_fma_f64 v[144:145], v[120:121], s[22:23], v[128:129]
	s_wait_loadcnt 0x0
	v_add_f64_e64 v[124:125], v[239:240], -v[4:5]
	scratch_load_b64 v[4:5], off, off offset:208 th:TH_LOAD_LU ; 8-byte Folded Reload
	v_fma_f64 v[126:127], v[126:127], s[18:19], v[104:105]
	v_add_f64_e64 v[137:138], v[124:125], -v[110:111]
	v_add_f64_e32 v[132:133], v[124:125], v[110:111]
	v_add_f64_e64 v[124:125], v[102:103], -v[124:125]
	s_delay_alu instid0(VALU_DEP_4) | instskip(NEXT) | instid1(VALU_DEP_4)
	v_add_f64_e32 v[144:145], v[144:145], v[126:127]
	v_mul_f64_e32 v[137:138], s[20:21], v[137:138]
	s_delay_alu instid0(VALU_DEP_4) | instskip(SKIP_1) | instid1(VALU_DEP_3)
	v_add_f64_e32 v[132:133], v[132:133], v[102:103]
	v_mul_f64_e32 v[102:103], s[22:23], v[120:121]
	v_fma_f64 v[146:147], v[124:125], s[10:11], v[137:138]
	s_delay_alu instid0(VALU_DEP_2) | instskip(SKIP_1) | instid1(VALU_DEP_3)
	v_fma_f64 v[102:103], v[0:1], s[14:15], -v[102:103]
	v_fma_f64 v[0:1], v[0:1], s[12:13], -v[128:129]
	v_fma_f64 v[146:147], v[132:133], s[0:1], v[146:147]
	s_delay_alu instid0(VALU_DEP_3) | instskip(NEXT) | instid1(VALU_DEP_3)
	v_add_f64_e32 v[102:103], v[102:103], v[126:127]
	v_add_f64_e32 v[0:1], v[0:1], v[126:127]
	s_delay_alu instid0(VALU_DEP_3) | instskip(SKIP_3) | instid1(VALU_DEP_2)
	v_add_f64_e64 v[150:151], v[144:145], -v[146:147]
	ds_store_2addr_b64 v178, v[104:105], v[150:151] offset1:7
	v_fma_f64 v[104:105], v[2:3], s[6:7], -v[137:138]
	v_mul_f64_e32 v[2:3], s[6:7], v[2:3]
	v_fma_f64 v[104:105], v[132:133], s[0:1], v[104:105]
	s_delay_alu instid0(VALU_DEP_2) | instskip(NEXT) | instid1(VALU_DEP_2)
	v_fma_f64 v[2:3], v[124:125], s[2:3], -v[2:3]
	v_add_f64_e32 v[110:111], v[104:105], v[102:103]
	s_delay_alu instid0(VALU_DEP_2) | instskip(SKIP_2) | instid1(VALU_DEP_3)
	v_fma_f64 v[2:3], v[132:133], s[0:1], v[2:3]
	v_add_f64_e64 v[102:103], v[102:103], -v[104:105]
	v_add_f64_e64 v[104:105], v[195:196], -v[140:141]
	;; [unrolled: 1-line block ×3, first 2 shown]
	v_add_f64_e32 v[0:1], v[2:3], v[0:1]
	v_add_f64_e32 v[2:3], v[208:209], v[193:194]
	ds_store_2addr_b64 v178, v[120:121], v[110:111] offset0:14 offset1:21
	ds_store_2addr_b64 v178, v[102:103], v[0:1] offset0:28 offset1:35
	s_wait_loadcnt 0x0
	v_add_f64_e64 v[102:103], v[112:113], -v[4:5]
	scratch_load_b64 v[4:5], off, off offset:320 th:TH_LOAD_LU ; 8-byte Folded Reload
	v_add_f64_e32 v[0:1], v[146:147], v[144:145]
	ds_store_b64 v178, v[0:1] offset:336
	scratch_load_b64 v[0:1], off, off offset:352 th:TH_LOAD_LU ; 8-byte Folded Reload
	s_wait_loadcnt 0x1
	v_add_f64_e32 v[108:109], v[108:109], v[4:5]
	scratch_load_b64 v[4:5], off, off offset:200 th:TH_LOAD_LU ; 8-byte Folded Reload
	s_wait_loadcnt 0x0
	v_add_f64_e64 v[110:111], v[4:5], -v[174:175]
	scratch_load_b64 v[4:5], off, off offset:192 th:TH_LOAD_LU ; 8-byte Folded Reload
	v_add_f64_e32 v[0:1], v[184:185], v[0:1]
	v_add_f64_e64 v[126:127], v[110:111], -v[104:105]
	v_add_f64_e32 v[124:125], v[110:111], v[104:105]
	s_delay_alu instid0(VALU_DEP_3)
	v_add_f64_e32 v[112:113], v[2:3], v[0:1]
	v_add_f64_e64 v[120:121], v[0:1], -v[108:109]
	v_add_f64_e64 v[110:111], v[102:103], -v[110:111]
	;; [unrolled: 1-line block ×3, first 2 shown]
	v_mul_f64_e32 v[126:127], s[20:21], v[126:127]
	v_add_f64_e32 v[124:125], v[124:125], v[102:103]
	v_add_f64_e32 v[112:113], v[108:109], v[112:113]
	v_add_f64_e64 v[108:109], v[108:109], -v[2:3]
	v_mul_f64_e32 v[120:121], s[16:17], v[120:121]
	v_add_f64_e64 v[2:3], v[104:105], -v[102:103]
	v_fma_f64 v[132:133], v[110:111], s[10:11], v[126:127]
	v_add_f64_e32 v[98:99], v[98:99], v[112:113]
	s_delay_alu instid0(VALU_DEP_4) | instskip(NEXT) | instid1(VALU_DEP_4)
	v_fma_f64 v[128:129], v[108:109], s[22:23], v[120:121]
	v_fma_f64 v[102:103], v[2:3], s[6:7], -v[126:127]
	v_mul_f64_e32 v[2:3], s[6:7], v[2:3]
	v_fma_f64 v[132:133], v[124:125], s[0:1], v[132:133]
	v_fma_f64 v[112:113], v[112:113], s[18:19], v[98:99]
	s_delay_alu instid0(VALU_DEP_4) | instskip(NEXT) | instid1(VALU_DEP_4)
	v_fma_f64 v[102:103], v[124:125], s[0:1], v[102:103]
	v_fma_f64 v[2:3], v[110:111], s[2:3], -v[2:3]
	s_delay_alu instid0(VALU_DEP_3) | instskip(NEXT) | instid1(VALU_DEP_2)
	v_add_f64_e32 v[128:129], v[128:129], v[112:113]
	v_fma_f64 v[2:3], v[124:125], s[0:1], v[2:3]
	s_delay_alu instid0(VALU_DEP_2) | instskip(SKIP_2) | instid1(VALU_DEP_1)
	v_add_f64_e64 v[134:135], v[128:129], -v[132:133]
	ds_store_2addr_b64 v179, v[98:99], v[134:135] offset1:7
	v_mul_f64_e32 v[98:99], s[22:23], v[108:109]
	v_fma_f64 v[98:99], v[0:1], s[14:15], -v[98:99]
	v_fma_f64 v[0:1], v[0:1], s[12:13], -v[120:121]
	s_delay_alu instid0(VALU_DEP_2) | instskip(NEXT) | instid1(VALU_DEP_2)
	v_add_f64_e32 v[98:99], v[98:99], v[112:113]
	v_add_f64_e32 v[0:1], v[0:1], v[112:113]
	s_delay_alu instid0(VALU_DEP_2)
	v_add_f64_e32 v[104:105], v[102:103], v[98:99]
	v_add_f64_e64 v[98:99], v[98:99], -v[102:103]
	s_wait_loadcnt 0x0
	v_add_f64_e64 v[102:103], v[158:159], -v[4:5]
	scratch_load_b64 v[4:5], off, off offset:368 th:TH_LOAD_LU ; 8-byte Folded Reload
	v_add_f64_e64 v[108:109], v[0:1], -v[2:3]
	v_add_f64_e32 v[0:1], v[2:3], v[0:1]
	v_add_f64_e32 v[2:3], v[160:161], v[252:253]
	ds_store_2addr_b64 v179, v[108:109], v[104:105] offset0:14 offset1:21
	ds_store_2addr_b64 v179, v[98:99], v[0:1] offset0:28 offset1:35
	v_add_f64_e32 v[0:1], v[132:133], v[128:129]
	v_add_f64_e64 v[98:99], v[206:207], -v[152:153]
	v_mov_b32_e32 v153, v199
	ds_store_b64 v179, v[0:1] offset:336
	v_add_f64_e32 v[0:1], v[114:115], v[204:205]
	s_delay_alu instid0(VALU_DEP_1)
	v_add_f64_e32 v[110:111], v[2:3], v[0:1]
	s_wait_loadcnt 0x0
	v_add_f64_e32 v[104:105], v[4:5], v[122:123]
	scratch_load_b64 v[4:5], off, off offset:184 th:TH_LOAD_LU ; 8-byte Folded Reload
	v_add_f64_e32 v[110:111], v[104:105], v[110:111]
	v_add_f64_e64 v[112:113], v[0:1], -v[104:105]
	v_add_f64_e64 v[104:105], v[104:105], -v[2:3]
	;; [unrolled: 1-line block ×4, first 2 shown]
	v_add_f64_e32 v[100:101], v[100:101], v[110:111]
	v_mul_f64_e32 v[112:113], s[16:17], v[112:113]
	s_delay_alu instid0(VALU_DEP_2) | instskip(NEXT) | instid1(VALU_DEP_2)
	v_fma_f64 v[110:111], v[110:111], s[18:19], v[100:101]
	v_fma_f64 v[122:123], v[104:105], s[22:23], v[112:113]
	s_delay_alu instid0(VALU_DEP_1)
	v_add_f64_e32 v[122:123], v[122:123], v[110:111]
	s_wait_loadcnt 0x0
	v_add_f64_e64 v[108:109], v[130:131], -v[4:5]
	scratch_load_b64 v[4:5], off, off offset:272 th:TH_LOAD_LU ; 8-byte Folded Reload
	v_add_f64_e64 v[120:121], v[108:109], -v[102:103]
	v_add_f64_e32 v[114:115], v[108:109], v[102:103]
	v_add_f64_e64 v[108:109], v[98:99], -v[108:109]
	s_delay_alu instid0(VALU_DEP_3) | instskip(NEXT) | instid1(VALU_DEP_3)
	v_mul_f64_e32 v[120:121], s[20:21], v[120:121]
	v_add_f64_e32 v[114:115], v[114:115], v[98:99]
	v_mul_f64_e32 v[98:99], s[22:23], v[104:105]
	s_delay_alu instid0(VALU_DEP_3) | instskip(NEXT) | instid1(VALU_DEP_2)
	v_fma_f64 v[124:125], v[108:109], s[10:11], v[120:121]
	v_fma_f64 v[98:99], v[0:1], s[14:15], -v[98:99]
	v_fma_f64 v[0:1], v[0:1], s[12:13], -v[112:113]
	s_delay_alu instid0(VALU_DEP_3) | instskip(NEXT) | instid1(VALU_DEP_3)
	v_fma_f64 v[124:125], v[114:115], s[0:1], v[124:125]
	v_add_f64_e32 v[98:99], v[98:99], v[110:111]
	s_delay_alu instid0(VALU_DEP_3) | instskip(NEXT) | instid1(VALU_DEP_3)
	v_add_f64_e32 v[0:1], v[0:1], v[110:111]
	v_add_f64_e64 v[126:127], v[122:123], -v[124:125]
	ds_store_2addr_b64 v181, v[100:101], v[126:127] offset1:7
	v_fma_f64 v[100:101], v[2:3], s[6:7], -v[120:121]
	v_mul_f64_e32 v[2:3], s[6:7], v[2:3]
	s_delay_alu instid0(VALU_DEP_2) | instskip(NEXT) | instid1(VALU_DEP_2)
	v_fma_f64 v[100:101], v[114:115], s[0:1], v[100:101]
	v_fma_f64 v[2:3], v[108:109], s[2:3], -v[2:3]
	s_delay_alu instid0(VALU_DEP_2) | instskip(NEXT) | instid1(VALU_DEP_2)
	v_add_f64_e32 v[102:103], v[100:101], v[98:99]
	v_fma_f64 v[2:3], v[114:115], s[0:1], v[2:3]
	v_add_f64_e64 v[98:99], v[98:99], -v[100:101]
	s_delay_alu instid0(VALU_DEP_2)
	v_add_f64_e64 v[104:105], v[0:1], -v[2:3]
	v_add_f64_e32 v[0:1], v[2:3], v[0:1]
	v_add_f64_e32 v[2:3], v[188:189], v[246:247]
	ds_store_2addr_b64 v181, v[104:105], v[102:103] offset0:14 offset1:21
	ds_store_2addr_b64 v181, v[98:99], v[0:1] offset0:28 offset1:35
	v_add_f64_e32 v[0:1], v[124:125], v[122:123]
	s_wait_loadcnt 0x0
	v_add_f64_e64 v[98:99], v[18:19], -v[4:5]
	v_add_f64_e32 v[102:103], v[250:251], v[248:249]
	ds_store_b64 v181, v[0:1] offset:336
	s_clause 0x1
	scratch_load_b64 v[4:5], off, off offset:240 th:TH_LOAD_LU
	scratch_load_b64 v[7:8], off, off offset:256 th:TH_LOAD_LU
	v_add_f64_e32 v[0:1], v[106:107], v[244:245]
	s_delay_alu instid0(VALU_DEP_1) | instskip(SKIP_2) | instid1(VALU_DEP_3)
	v_add_f64_e32 v[108:109], v[2:3], v[0:1]
	v_add_f64_e64 v[110:111], v[0:1], -v[102:103]
	v_add_f64_e64 v[0:1], v[2:3], -v[0:1]
	v_add_f64_e32 v[108:109], v[102:103], v[108:109]
	v_add_f64_e64 v[102:103], v[102:103], -v[2:3]
	s_delay_alu instid0(VALU_DEP_4) | instskip(NEXT) | instid1(VALU_DEP_3)
	v_mul_f64_e32 v[110:111], s[16:17], v[110:111]
	v_add_f64_e32 v[84:85], v[84:85], v[108:109]
	s_delay_alu instid0(VALU_DEP_2) | instskip(NEXT) | instid1(VALU_DEP_2)
	v_fma_f64 v[120:121], v[102:103], s[22:23], v[110:111]
	v_fma_f64 v[108:109], v[108:109], s[18:19], v[84:85]
	s_delay_alu instid0(VALU_DEP_1)
	v_add_f64_e32 v[120:121], v[120:121], v[108:109]
	s_wait_loadcnt 0x0
	v_add_f64_e64 v[100:101], v[7:8], -v[4:5]
	s_clause 0x1
	scratch_load_b64 v[4:5], off, off offset:216 th:TH_LOAD_LU
	scratch_load_b64 v[7:8], off, off offset:224 th:TH_LOAD_LU
	v_add_f64_e64 v[2:3], v[100:101], -v[98:99]
	s_wait_loadcnt 0x0
	v_add_f64_e64 v[104:105], v[4:5], -v[7:8]
	s_delay_alu instid0(VALU_DEP_1) | instskip(SKIP_2) | instid1(VALU_DEP_3)
	v_add_f64_e64 v[114:115], v[104:105], -v[100:101]
	v_add_f64_e32 v[112:113], v[104:105], v[100:101]
	v_add_f64_e64 v[104:105], v[98:99], -v[104:105]
	v_mul_f64_e32 v[114:115], s[20:21], v[114:115]
	s_delay_alu instid0(VALU_DEP_3) | instskip(NEXT) | instid1(VALU_DEP_2)
	v_add_f64_e32 v[112:113], v[112:113], v[98:99]
	v_fma_f64 v[122:123], v[104:105], s[10:11], v[114:115]
	v_fma_f64 v[98:99], v[2:3], s[6:7], -v[114:115]
	v_mul_f64_e32 v[2:3], s[6:7], v[2:3]
	v_add_nc_u32_e32 v115, 0xc00, v255
	s_delay_alu instid0(VALU_DEP_4) | instskip(NEXT) | instid1(VALU_DEP_4)
	v_fma_f64 v[122:123], v[112:113], s[0:1], v[122:123]
	v_fma_f64 v[98:99], v[112:113], s[0:1], v[98:99]
	s_delay_alu instid0(VALU_DEP_4) | instskip(NEXT) | instid1(VALU_DEP_3)
	v_fma_f64 v[2:3], v[104:105], s[2:3], -v[2:3]
	v_add_f64_e64 v[124:125], v[120:121], -v[122:123]
	s_delay_alu instid0(VALU_DEP_2) | instskip(SKIP_2) | instid1(VALU_DEP_1)
	v_fma_f64 v[2:3], v[112:113], s[0:1], v[2:3]
	ds_store_2addr_b64 v180, v[84:85], v[124:125] offset1:7
	v_mul_f64_e32 v[84:85], s[22:23], v[102:103]
	v_fma_f64 v[84:85], v[0:1], s[14:15], -v[84:85]
	v_fma_f64 v[0:1], v[0:1], s[12:13], -v[110:111]
	s_delay_alu instid0(VALU_DEP_2) | instskip(NEXT) | instid1(VALU_DEP_2)
	v_add_f64_e32 v[84:85], v[84:85], v[108:109]
	v_add_f64_e32 v[0:1], v[0:1], v[108:109]
	s_delay_alu instid0(VALU_DEP_2) | instskip(NEXT) | instid1(VALU_DEP_2)
	v_add_f64_e32 v[100:101], v[98:99], v[84:85]
	v_add_f64_e64 v[102:103], v[0:1], -v[2:3]
	v_add_f64_e64 v[84:85], v[84:85], -v[98:99]
	v_add_f64_e32 v[0:1], v[2:3], v[0:1]
	ds_store_2addr_b64 v180, v[102:103], v[100:101] offset0:14 offset1:21
	ds_store_2addr_b64 v180, v[84:85], v[0:1] offset0:28 offset1:35
	v_add_f64_e32 v[0:1], v[122:123], v[120:121]
	ds_store_b64 v180, v[0:1] offset:336
	v_mov_b32_e32 v0, v202
	scratch_store_b64 off, v[0:1], off offset:216 ; 8-byte Folded Spill
	v_mul_u32_u24_e32 v0, 6, v202
	global_wb scope:SCOPE_SE
	s_wait_storecnt_dscnt 0x0
	s_barrier_signal -1
	s_barrier_wait -1
	global_inv scope:SCOPE_SE
	v_lshlrev_b32_e32 v112, 4, v0
	ds_load_2addr_b64 v[102:105], v190 offset0:174 offset1:223
	s_clause 0x1
	global_load_b128 v[98:101], v112, s[4:5] offset:688
	global_load_b128 v[0:3], v112, s[4:5] offset:672
	s_wait_loadcnt_dscnt 0x100
	v_mul_f64_e32 v[84:85], v[102:103], v[100:101]
	s_wait_loadcnt 0x0
	v_mul_f64_e32 v[16:17], v[116:117], v[2:3]
	s_delay_alu instid0(VALU_DEP_2) | instskip(SKIP_1) | instid1(VALU_DEP_1)
	v_fma_f64 v[106:107], v[94:95], v[98:99], -v[84:85]
	v_mul_f64_e32 v[84:85], v[104:105], v[100:101]
	v_fma_f64 v[253:254], v[96:97], v[98:99], -v[84:85]
	v_mul_f64_e32 v[84:85], v[94:95], v[100:101]
	v_mul_f64_e32 v[94:95], v[96:97], v[100:101]
	s_delay_alu instid0(VALU_DEP_2) | instskip(NEXT) | instid1(VALU_DEP_2)
	v_fma_f64 v[178:179], v[102:103], v[98:99], v[84:85]
	v_fma_f64 v[180:181], v[104:105], v[98:99], v[94:95]
	s_clause 0x1
	global_load_b128 v[94:97], v112, s[4:5] offset:720
	global_load_b128 v[102:105], v112, s[4:5] offset:704
	ds_load_2addr_b64 v[98:101], v6 offset0:92 offset1:141
	s_wait_loadcnt_dscnt 0x100
	v_mul_f64_e32 v[84:85], v[98:99], v[96:97]
	s_delay_alu instid0(VALU_DEP_1) | instskip(SKIP_1) | instid1(VALU_DEP_1)
	v_fma_f64 v[4:5], v[90:91], v[94:95], -v[84:85]
	v_mul_f64_e32 v[84:85], v[100:101], v[96:97]
	v_fma_f64 v[154:155], v[92:93], v[94:95], -v[84:85]
	v_mul_f64_e32 v[84:85], v[90:91], v[96:97]
	v_mul_f64_e32 v[90:91], v[92:93], v[96:97]
	s_delay_alu instid0(VALU_DEP_2) | instskip(NEXT) | instid1(VALU_DEP_2)
	v_fma_f64 v[8:9], v[98:99], v[94:95], v[84:85]
	v_fma_f64 v[213:214], v[100:101], v[94:95], v[90:91]
	s_clause 0x1
	global_load_b128 v[90:93], v112, s[4:5] offset:752
	global_load_b128 v[98:101], v112, s[4:5] offset:736
	ds_load_2addr_b64 v[94:97], v199 offset0:10 offset1:59
	s_clause 0x1
	scratch_store_b64 off, v[4:5], off offset:120
	scratch_store_b64 off, v[8:9], off offset:168
	s_wait_loadcnt_dscnt 0x100
	v_mul_f64_e32 v[84:85], v[94:95], v[92:93]
	s_delay_alu instid0(VALU_DEP_1)
	v_fma_f64 v[6:7], v[86:87], v[90:91], -v[84:85]
	v_mul_f64_e32 v[84:85], v[96:97], v[92:93]
	s_clause 0x1
	scratch_store_b64 off, v[106:107], off offset:104
	scratch_store_b64 off, v[6:7], off offset:72
	v_fma_f64 v[200:201], v[88:89], v[90:91], -v[84:85]
	v_mul_f64_e32 v[84:85], v[86:87], v[92:93]
	v_mul_f64_e32 v[86:87], v[88:89], v[92:93]
	s_delay_alu instid0(VALU_DEP_2) | instskip(NEXT) | instid1(VALU_DEP_2)
	v_fma_f64 v[10:11], v[94:95], v[90:91], v[84:85]
	v_fma_f64 v[217:218], v[96:97], v[90:91], v[86:87]
	v_and_b32_e32 v14, 0xff, v176
	v_and_b32_e32 v86, 0xff, v136
	scratch_store_b64 off, v[178:179], off offset:184 ; 8-byte Folded Spill
	v_mul_lo_u16 v84, 0x4f, v14
	v_mul_lo_u16 v86, 0x4f, v86
	s_delay_alu instid0(VALU_DEP_2) | instskip(NEXT) | instid1(VALU_DEP_2)
	v_lshrrev_b16 v84, 8, v84
	v_lshrrev_b16 v86, 8, v86
	s_delay_alu instid0(VALU_DEP_2) | instskip(NEXT) | instid1(VALU_DEP_1)
	v_sub_nc_u16 v85, v176, v84
	v_lshrrev_b16 v85, 1, v85
	s_delay_alu instid0(VALU_DEP_1) | instskip(SKIP_3) | instid1(VALU_DEP_1)
	v_and_b32_e32 v85, 0x7f, v85
	ds_load_2addr_b64 v[92:95], v12 offset0:16 offset1:65
	v_mov_b32_e32 v202, v12
	v_add_nc_u16 v84, v85, v84
	v_lshrrev_b16 v84, 5, v84
	scratch_store_b64 off, v[10:11], off offset:200 ; 8-byte Folded Spill
	v_mul_lo_u16 v84, v84, 49
	s_delay_alu instid0(VALU_DEP_1) | instskip(NEXT) | instid1(VALU_DEP_1)
	v_sub_nc_u16 v84, v176, v84
	v_and_b32_e32 v87, 0xff, v84
	s_delay_alu instid0(VALU_DEP_1) | instskip(NEXT) | instid1(VALU_DEP_1)
	v_mul_u32_u24_e32 v84, 6, v87
	v_lshlrev_b32_e32 v96, 4, v84
	s_clause 0x1
	global_load_b128 v[88:91], v96, s[4:5] offset:688
	global_load_b128 v[146:149], v96, s[4:5] offset:672
	s_wait_loadcnt_dscnt 0x100
	v_mul_f64_e32 v[84:85], v[92:93], v[90:91]
	s_wait_loadcnt 0x0
	v_mul_f64_e32 v[18:19], v[118:119], v[148:149]
	s_delay_alu instid0(VALU_DEP_2) | instskip(SKIP_1) | instid1(VALU_DEP_1)
	v_fma_f64 v[164:165], v[80:81], v[88:89], -v[84:85]
	v_mul_f64_e32 v[80:81], v[80:81], v[90:91]
	v_fma_f64 v[84:85], v[92:93], v[88:89], v[80:81]
	v_sub_nc_u16 v88, v136, v86
	s_delay_alu instid0(VALU_DEP_1) | instskip(NEXT) | instid1(VALU_DEP_1)
	v_lshrrev_b16 v88, 1, v88
	v_and_b32_e32 v88, 0x7f, v88
	s_delay_alu instid0(VALU_DEP_1) | instskip(NEXT) | instid1(VALU_DEP_1)
	v_add_nc_u16 v86, v88, v86
	v_lshrrev_b16 v86, 5, v86
	s_delay_alu instid0(VALU_DEP_1) | instskip(NEXT) | instid1(VALU_DEP_1)
	v_mul_lo_u16 v86, v86, 49
	v_sub_nc_u16 v86, v136, v86
	s_delay_alu instid0(VALU_DEP_1) | instskip(NEXT) | instid1(VALU_DEP_1)
	v_and_b32_e32 v86, 0xff, v86
	v_mul_u32_u24_e32 v88, 6, v86
	s_delay_alu instid0(VALU_DEP_1)
	v_lshlrev_b32_e32 v97, 4, v88
	s_clause 0x2
	global_load_b128 v[88:91], v97, s[4:5] offset:688
	global_load_b128 v[108:111], v97, s[4:5] offset:672
	;; [unrolled: 1-line block ×3, first 2 shown]
	s_wait_loadcnt 0x2
	v_mul_f64_e32 v[92:93], v[94:95], v[90:91]
	s_delay_alu instid0(VALU_DEP_1) | instskip(SKIP_1) | instid1(VALU_DEP_1)
	v_fma_f64 v[113:114], v[82:83], v[88:89], -v[92:93]
	v_mul_f64_e32 v[82:83], v[82:83], v[90:91]
	v_fma_f64 v[124:125], v[94:95], v[88:89], v[82:83]
	global_load_b128 v[88:91], v96, s[4:5] offset:720
	ds_load_2addr_b64 v[92:95], v15 offset0:190 offset1:239
	s_wait_loadcnt_dscnt 0x0
	v_mul_f64_e32 v[82:83], v[92:93], v[90:91]
	s_delay_alu instid0(VALU_DEP_1) | instskip(SKIP_1) | instid1(VALU_DEP_1)
	v_fma_f64 v[82:83], v[76:77], v[88:89], -v[82:83]
	v_mul_f64_e32 v[76:77], v[76:77], v[90:91]
	v_fma_f64 v[80:81], v[92:93], v[88:89], v[76:77]
	s_clause 0x1
	global_load_b128 v[88:91], v97, s[4:5] offset:720
	global_load_b128 v[120:123], v97, s[4:5] offset:704
	s_wait_loadcnt 0x1
	v_mul_f64_e32 v[92:93], v[94:95], v[90:91]
	s_delay_alu instid0(VALU_DEP_1) | instskip(SKIP_1) | instid1(VALU_DEP_1)
	v_fma_f64 v[126:127], v[78:79], v[88:89], -v[92:93]
	v_mul_f64_e32 v[78:79], v[78:79], v[90:91]
	v_fma_f64 v[186:187], v[94:95], v[88:89], v[78:79]
	s_clause 0x1
	global_load_b128 v[88:91], v96, s[4:5] offset:752
	global_load_b128 v[92:95], v96, s[4:5] offset:736
	ds_load_2addr_b64 v[137:140], v199 offset0:108 offset1:157
	s_wait_loadcnt_dscnt 0x100
	v_mul_f64_e32 v[78:79], v[137:138], v[90:91]
	s_delay_alu instid0(VALU_DEP_1) | instskip(SKIP_1) | instid1(VALU_DEP_1)
	v_fma_f64 v[78:79], v[72:73], v[88:89], -v[78:79]
	v_mul_f64_e32 v[72:73], v[72:73], v[90:91]
	v_fma_f64 v[72:73], v[137:138], v[88:89], v[72:73]
	s_clause 0x1
	global_load_b128 v[88:91], v97, s[4:5] offset:752
	global_load_b128 v[141:144], v97, s[4:5] offset:736
	scratch_load_b32 v12, off, off offset:16 ; 4-byte Folded Reload
	s_wait_loadcnt 0x2
	v_mul_f64_e32 v[96:97], v[139:140], v[90:91]
	s_delay_alu instid0(VALU_DEP_1) | instskip(SKIP_1) | instid1(VALU_DEP_1)
	v_fma_f64 v[247:248], v[74:75], v[88:89], -v[96:97]
	v_mul_f64_e32 v[74:75], v[74:75], v[90:91]
	v_fma_f64 v[158:159], v[139:140], v[88:89], v[74:75]
	ds_load_2addr_b64 v[88:91], v115 offset0:106 offset1:155
	s_wait_dscnt 0x0
	v_mul_f64_e32 v[74:75], v[88:89], v[110:111]
	s_delay_alu instid0(VALU_DEP_1) | instskip(SKIP_1) | instid1(VALU_DEP_1)
	v_fma_f64 v[76:77], v[68:69], v[108:109], -v[74:75]
	v_mul_f64_e32 v[68:69], v[68:69], v[110:111]
	v_fma_f64 v[151:152], v[88:89], v[108:109], v[68:69]
	s_wait_loadcnt 0x0
	v_and_b32_e32 v68, 0xff, v12
	s_delay_alu instid0(VALU_DEP_1) | instskip(NEXT) | instid1(VALU_DEP_1)
	v_mul_lo_u16 v68, 0x4f, v68
	v_lshrrev_b16 v68, 8, v68
	s_delay_alu instid0(VALU_DEP_1) | instskip(NEXT) | instid1(VALU_DEP_1)
	v_sub_nc_u16 v69, v12, v68
	v_lshrrev_b16 v69, 1, v69
	s_delay_alu instid0(VALU_DEP_1) | instskip(NEXT) | instid1(VALU_DEP_1)
	v_and_b32_e32 v69, 0x7f, v69
	v_add_nc_u16 v68, v69, v68
	s_delay_alu instid0(VALU_DEP_1) | instskip(NEXT) | instid1(VALU_DEP_1)
	v_lshrrev_b16 v68, 5, v68
	v_mul_lo_u16 v68, v68, 49
	s_delay_alu instid0(VALU_DEP_1) | instskip(SKIP_1) | instid1(VALU_DEP_2)
	v_sub_nc_u16 v68, v12, v68
	v_mov_b32_e32 v12, v13
	v_and_b32_e32 v68, 0xff, v68
	s_delay_alu instid0(VALU_DEP_1) | instskip(NEXT) | instid1(VALU_DEP_1)
	v_mul_u32_u24_e32 v69, 6, v68
	v_lshlrev_b32_e32 v96, 4, v69
	s_clause 0x1
	global_load_b128 v[108:111], v96, s[4:5] offset:672
	global_load_b128 v[137:140], v96, s[4:5] offset:688
	s_wait_loadcnt 0x1
	v_mul_f64_e32 v[74:75], v[90:91], v[110:111]
	s_delay_alu instid0(VALU_DEP_1) | instskip(SKIP_1) | instid1(VALU_DEP_1)
	v_fma_f64 v[192:193], v[70:71], v[108:109], -v[74:75]
	v_mul_f64_e32 v[69:70], v[70:71], v[110:111]
	v_fma_f64 v[206:207], v[90:91], v[108:109], v[69:70]
	ds_load_2addr_b64 v[88:91], v203 offset0:152 offset1:201
	s_wait_dscnt 0x0
	v_mul_f64_e32 v[69:70], v[88:89], v[122:123]
	v_dual_mov_b32 v128, v206 :: v_dual_mov_b32 v129, v207
	s_delay_alu instid0(VALU_DEP_2) | instskip(SKIP_1) | instid1(VALU_DEP_1)
	v_fma_f64 v[245:246], v[64:65], v[120:121], -v[69:70]
	v_mul_f64_e32 v[64:65], v[64:65], v[122:123]
	v_fma_f64 v[74:75], v[88:89], v[120:121], v[64:65]
	s_clause 0x1
	global_load_b128 v[108:111], v96, s[4:5] offset:704
	global_load_b128 v[120:123], v96, s[4:5] offset:720
	s_wait_loadcnt 0x1
	v_mul_f64_e32 v[64:65], v[90:91], v[110:111]
	s_delay_alu instid0(VALU_DEP_1) | instskip(SKIP_1) | instid1(VALU_DEP_1)
	v_fma_f64 v[194:195], v[66:67], v[108:109], -v[64:65]
	v_mul_f64_e32 v[64:65], v[66:67], v[110:111]
	v_fma_f64 v[176:177], v[90:91], v[108:109], v[64:65]
	ds_load_2addr_b64 v[64:67], v13 offset0:70 offset1:119
	s_clause 0x1
	global_load_b128 v[88:91], v96, s[4:5] offset:736
	global_load_b128 v[108:111], v96, s[4:5] offset:752
	scratch_load_b32 v13, off, off          ; 4-byte Folded Reload
	s_wait_dscnt 0x0
	v_mul_f64_e32 v[69:70], v[64:65], v[143:144]
	s_delay_alu instid0(VALU_DEP_1) | instskip(SKIP_1) | instid1(VALU_DEP_1)
	v_fma_f64 v[236:237], v[60:61], v[141:142], -v[69:70]
	v_mul_f64_e32 v[60:61], v[60:61], v[143:144]
	v_fma_f64 v[232:233], v[64:65], v[141:142], v[60:61]
	s_wait_loadcnt 0x2
	v_mul_f64_e32 v[60:61], v[66:67], v[90:91]
	s_delay_alu instid0(VALU_DEP_1) | instskip(SKIP_1) | instid1(VALU_DEP_1)
	v_fma_f64 v[208:209], v[62:63], v[88:89], -v[60:61]
	v_mul_f64_e32 v[60:61], v[62:63], v[90:91]
	v_fma_f64 v[227:228], v[66:67], v[88:89], v[60:61]
	ds_load_2addr_b64 v[60:63], v202 offset0:114 offset1:163
	s_wait_dscnt 0x0
	v_mul_f64_e32 v[64:65], v[60:61], v[139:140]
	s_delay_alu instid0(VALU_DEP_1) | instskip(SKIP_1) | instid1(VALU_DEP_1)
	v_fma_f64 v[160:161], v[56:57], v[137:138], -v[64:65]
	v_mul_f64_e32 v[56:57], v[56:57], v[139:140]
	v_fma_f64 v[130:131], v[60:61], v[137:138], v[56:57]
	s_wait_loadcnt 0x0
	v_and_b32_e32 v56, 0xffff, v13
	s_delay_alu instid0(VALU_DEP_1) | instskip(NEXT) | instid1(VALU_DEP_1)
	v_mul_u32_u24_e32 v56, 0x4e5f, v56
	v_lshrrev_b32_e32 v56, 16, v56
	s_delay_alu instid0(VALU_DEP_1) | instskip(NEXT) | instid1(VALU_DEP_1)
	v_sub_nc_u16 v57, v13, v56
	v_lshrrev_b16 v57, 1, v57
	s_delay_alu instid0(VALU_DEP_1) | instskip(NEXT) | instid1(VALU_DEP_1)
	v_add_nc_u16 v56, v57, v56
	v_lshrrev_b16 v56, 5, v56
	s_delay_alu instid0(VALU_DEP_1) | instskip(NEXT) | instid1(VALU_DEP_1)
	v_mul_lo_u16 v56, v56, 49
	v_sub_nc_u16 v56, v13, v56
	s_delay_alu instid0(VALU_DEP_1) | instskip(NEXT) | instid1(VALU_DEP_1)
	v_and_b32_e32 v56, 0xffff, v56
	v_mul_u32_u24_e32 v57, 6, v56
	s_delay_alu instid0(VALU_DEP_1)
	v_lshlrev_b32_e32 v69, 4, v57
	s_clause 0x1
	global_load_b128 v[64:67], v69, s[4:5] offset:688
	global_load_b128 v[88:91], v69, s[4:5] offset:672
	v_mov_b32_e32 v191, v12
	s_wait_loadcnt 0x1
	v_mul_f64_e32 v[60:61], v[62:63], v[66:67]
	s_delay_alu instid0(VALU_DEP_1) | instskip(SKIP_3) | instid1(VALU_DEP_3)
	v_fma_f64 v[229:230], v[58:59], v[64:65], -v[60:61]
	v_mul_f64_e32 v[57:58], v[58:59], v[66:67]
	v_add_nc_u32_e32 v67, 0x3000, v255
	v_add_nc_u32_e32 v66, 0x1c00, v255
	v_fma_f64 v[249:250], v[62:63], v[64:65], v[57:58]
	ds_load_2addr_b64 v[57:60], v67 offset0:32 offset1:81
	v_add_nc_u32_e32 v65, 0x3400, v255
	s_wait_dscnt 0x0
	v_mul_f64_e32 v[61:62], v[57:58], v[122:123]
	s_delay_alu instid0(VALU_DEP_1) | instskip(SKIP_4) | instid1(VALU_DEP_1)
	v_fma_f64 v[251:252], v[52:53], v[120:121], -v[61:62]
	s_clause 0x1
	global_load_b128 v[61:64], v69, s[4:5] offset:720
	global_load_b128 v[137:140], v69, s[4:5] offset:704
	v_mul_f64_e32 v[52:53], v[52:53], v[122:123]
	v_fma_f64 v[156:157], v[57:58], v[120:121], v[52:53]
	s_wait_loadcnt 0x1
	v_mul_f64_e32 v[52:53], v[59:60], v[63:64]
	s_delay_alu instid0(VALU_DEP_1) | instskip(SKIP_1) | instid1(VALU_DEP_1)
	v_fma_f64 v[184:185], v[54:55], v[61:62], -v[52:53]
	v_mul_f64_e32 v[52:53], v[54:55], v[63:64]
	v_fma_f64 v[196:197], v[59:60], v[61:62], v[52:53]
	ds_load_2addr_b64 v[52:55], v199 offset0:206 offset1:255
	s_wait_dscnt 0x0
	v_mul_f64_e32 v[57:58], v[52:53], v[110:111]
	s_delay_alu instid0(VALU_DEP_1)
	v_fma_f64 v[120:121], v[48:49], v[108:109], -v[57:58]
	s_clause 0x1
	global_load_b128 v[57:60], v69, s[4:5] offset:752
	global_load_b128 v[61:64], v69, s[4:5] offset:736
	v_mul_f64_e32 v[48:49], v[48:49], v[110:111]
	scratch_store_b32 off, v212, off offset:32 ; 4-byte Folded Spill
	v_fma_f64 v[234:235], v[52:53], v[108:109], v[48:49]
	s_wait_loadcnt 0x1
	v_mul_f64_e32 v[48:49], v[54:55], v[59:60]
	s_delay_alu instid0(VALU_DEP_1) | instskip(SKIP_1) | instid1(VALU_DEP_1)
	v_fma_f64 v[162:163], v[50:51], v[57:58], -v[48:49]
	v_mul_f64_e32 v[48:49], v[50:51], v[59:60]
	v_fma_f64 v[143:144], v[54:55], v[57:58], v[48:49]
	ds_load_2addr_b64 v[49:52], v190 offset0:76 offset1:125
	s_wait_dscnt 0x0
	v_mul_f64_e32 v[53:54], v[49:50], v[90:91]
	s_delay_alu instid0(VALU_DEP_1) | instskip(SKIP_1) | instid1(VALU_DEP_1)
	v_fma_f64 v[122:123], v[44:45], v[88:89], -v[53:54]
	v_mul_f64_e32 v[44:45], v[44:45], v[90:91]
	v_fma_f64 v[166:167], v[49:50], v[88:89], v[44:45]
	v_and_b32_e32 v44, 0xffff, v212
	s_delay_alu instid0(VALU_DEP_1) | instskip(NEXT) | instid1(VALU_DEP_1)
	v_mul_u32_u24_e32 v44, 0x4e5f, v44
	v_lshrrev_b32_e32 v44, 16, v44
	s_delay_alu instid0(VALU_DEP_1) | instskip(NEXT) | instid1(VALU_DEP_1)
	v_sub_nc_u16 v45, v212, v44
	v_lshrrev_b16 v45, 1, v45
	s_delay_alu instid0(VALU_DEP_1) | instskip(NEXT) | instid1(VALU_DEP_1)
	v_add_nc_u16 v44, v45, v44
	v_lshrrev_b16 v44, 5, v44
	s_delay_alu instid0(VALU_DEP_1) | instskip(NEXT) | instid1(VALU_DEP_1)
	v_mul_lo_u16 v44, v44, 49
	v_sub_nc_u16 v44, v212, v44
	s_delay_alu instid0(VALU_DEP_1) | instskip(NEXT) | instid1(VALU_DEP_1)
	v_and_b32_e32 v50, 0xffff, v44
	v_mul_u32_u24_e32 v44, 6, v50
	s_delay_alu instid0(VALU_DEP_1)
	v_lshlrev_b32_e32 v55, 4, v44
	s_clause 0x1
	global_load_b128 v[57:60], v55, s[4:5] offset:672
	global_load_b128 v[88:91], v55, s[4:5] offset:688
	s_wait_loadcnt 0x1
	v_mul_f64_e32 v[44:45], v[51:52], v[59:60]
	s_delay_alu instid0(VALU_DEP_1)
	v_fma_f64 v[188:189], v[46:47], v[57:58], -v[44:45]
	v_mul_f64_e32 v[44:45], v[46:47], v[59:60]
	ds_load_2addr_b64 v[46:49], v203 offset0:54 offset1:103
	v_fma_f64 v[14:15], v[51:52], v[57:58], v[44:45]
	s_wait_dscnt 0x0
	v_mul_f64_e32 v[44:45], v[48:49], v[135:136]
	s_delay_alu instid0(VALU_DEP_1) | instskip(SKIP_1) | instid1(VALU_DEP_1)
	v_fma_f64 v[219:220], v[42:43], v[133:134], -v[44:45]
	v_mul_f64_e32 v[42:43], v[42:43], v[135:136]
	v_fma_f64 v[42:43], v[48:49], v[133:134], v[42:43]
	v_mul_f64_e32 v[48:49], v[46:47], v[104:105]
	s_delay_alu instid0(VALU_DEP_1) | instskip(SKIP_1) | instid1(VALU_DEP_1)
	v_fma_f64 v[238:239], v[40:41], v[102:103], -v[48:49]
	v_mul_f64_e32 v[40:41], v[40:41], v[104:105]
	v_fma_f64 v[141:142], v[46:47], v[102:103], v[40:41]
	ds_load_2addr_b64 v[46:49], v66 offset0:84 offset1:133
	v_add_nc_u32_e32 v71, 0x2400, v255
	s_wait_dscnt 0x0
	v_mul_f64_e32 v[40:41], v[48:49], v[104:105]
	s_delay_alu instid0(VALU_DEP_1) | instskip(SKIP_1) | instid1(VALU_DEP_1)
	v_fma_f64 v[69:70], v[34:35], v[102:103], -v[40:41]
	v_mul_f64_e32 v[34:35], v[34:35], v[104:105]
	v_fma_f64 v[44:45], v[48:49], v[102:103], v[34:35]
	s_wait_loadcnt 0x0
	v_mul_f64_e32 v[34:35], v[46:47], v[90:91]
	s_clause 0x2
	scratch_store_b64 off, v[69:70], off offset:112
	scratch_store_b64 off, v[14:15], off offset:208
	;; [unrolled: 1-line block ×3, first 2 shown]
	v_fma_f64 v[243:244], v[32:33], v[88:89], -v[34:35]
	v_mul_f64_e32 v[32:33], v[32:33], v[90:91]
	s_delay_alu instid0(VALU_DEP_1)
	v_fma_f64 v[182:183], v[46:47], v[88:89], v[32:33]
	ds_load_2addr_b64 v[32:35], v71 offset0:122 offset1:171
	s_clause 0x1
	global_load_b128 v[46:49], v55, s[4:5] offset:704
	global_load_b128 v[51:54], v55, s[4:5] offset:720
	s_wait_dscnt 0x0
	v_mul_f64_e32 v[40:41], v[32:33], v[139:140]
	s_delay_alu instid0(VALU_DEP_1) | instskip(SKIP_1) | instid1(VALU_DEP_1)
	v_fma_f64 v[198:199], v[36:37], v[137:138], -v[40:41]
	v_mul_f64_e32 v[36:37], v[36:37], v[139:140]
	v_fma_f64 v[110:111], v[32:33], v[137:138], v[36:37]
	s_delay_alu instid0(VALU_DEP_1) | instskip(SKIP_2) | instid1(VALU_DEP_1)
	v_dual_mov_b32 v207, v111 :: v_dual_mov_b32 v206, v110
	s_wait_loadcnt 0x1
	v_mul_f64_e32 v[32:33], v[34:35], v[48:49]
	v_fma_f64 v[168:169], v[38:39], v[46:47], -v[32:33]
	v_mul_f64_e32 v[32:33], v[38:39], v[48:49]
	s_delay_alu instid0(VALU_DEP_1) | instskip(SKIP_3) | instid1(VALU_DEP_1)
	v_fma_f64 v[172:173], v[34:35], v[46:47], v[32:33]
	ds_load_2addr_b64 v[34:37], v65 offset0:100 offset1:149
	s_wait_dscnt 0x0
	v_mul_f64_e32 v[32:33], v[36:37], v[94:95]
	v_fma_f64 v[136:137], v[30:31], v[92:93], -v[32:33]
	v_mul_f64_e32 v[30:31], v[30:31], v[94:95]
	v_dual_mov_b32 v32, v122 :: v_dual_mov_b32 v33, v123
	v_dual_mov_b32 v122, v172 :: v_dual_mov_b32 v123, v173
	s_delay_alu instid0(VALU_DEP_3) | instskip(SKIP_1) | instid1(VALU_DEP_1)
	v_fma_f64 v[88:89], v[36:37], v[92:93], v[30:31]
	v_mul_f64_e32 v[36:37], v[34:35], v[100:101]
	v_fma_f64 v[223:224], v[28:29], v[98:99], -v[36:37]
	v_mul_f64_e32 v[28:29], v[28:29], v[100:101]
	s_delay_alu instid0(VALU_DEP_1) | instskip(SKIP_3) | instid1(VALU_DEP_1)
	v_fma_f64 v[134:135], v[34:35], v[98:99], v[28:29]
	ds_load_2addr_b64 v[34:37], v67 offset0:130 offset1:179
	s_wait_dscnt 0x0
	v_mul_f64_e32 v[28:29], v[36:37], v[100:101]
	v_fma_f64 v[13:14], v[22:23], v[98:99], -v[28:29]
	v_mul_f64_e32 v[22:23], v[22:23], v[100:101]
	s_delay_alu instid0(VALU_DEP_1)
	v_fma_f64 v[30:31], v[36:37], v[98:99], v[22:23]
	s_wait_loadcnt 0x0
	v_mul_f64_e32 v[22:23], v[34:35], v[53:54]
	s_clause 0x1
	scratch_store_b64 off, v[13:14], off offset:96
	scratch_store_b64 off, v[30:31], off offset:176
	v_fma_f64 v[132:133], v[20:21], v[51:52], -v[22:23]
	v_mul_f64_e32 v[20:21], v[20:21], v[53:54]
	s_delay_alu instid0(VALU_DEP_1)
	v_fma_f64 v[94:95], v[34:35], v[51:52], v[20:21]
	ds_load_2addr_b64 v[20:23], v12 offset0:168 offset1:217
	s_clause 0x1
	global_load_b128 v[34:37], v55, s[4:5] offset:736
	global_load_b128 v[38:41], v55, s[4:5] offset:752
	s_wait_dscnt 0x0
	v_mul_f64_e32 v[28:29], v[20:21], v[63:64]
	s_delay_alu instid0(VALU_DEP_1) | instskip(SKIP_1) | instid1(VALU_DEP_1)
	v_fma_f64 v[221:222], v[24:25], v[61:62], -v[28:29]
	v_mul_f64_e32 v[24:25], v[24:25], v[63:64]
	v_fma_f64 v[225:226], v[20:21], v[61:62], v[24:25]
	scratch_load_b128 v[61:64], off, off offset:144 th:TH_LOAD_LU ; 16-byte Folded Reload
	s_wait_loadcnt 0x2
	v_mul_f64_e32 v[20:21], v[22:23], v[36:37]
	s_delay_alu instid0(VALU_DEP_1) | instskip(SKIP_4) | instid1(VALU_DEP_4)
	v_fma_f64 v[170:171], v[26:27], v[34:35], -v[20:21]
	v_mul_f64_e32 v[20:21], v[26:27], v[36:37]
	v_add_f64_e64 v[26:27], v[178:179], -v[30:31]
	v_dual_mov_b32 v30, v186 :: v_dual_mov_b32 v31, v187
	v_dual_mov_b32 v186, v251 :: v_dual_mov_b32 v187, v252
	v_fma_f64 v[92:93], v[22:23], v[34:35], v[20:21]
	ds_load_b64 v[20:21], v255 offset:18816
	s_wait_loadcnt_dscnt 0x100
	v_mul_f64_e32 v[22:23], v[20:21], v[40:41]
	s_delay_alu instid0(VALU_DEP_1)
	v_fma_f64 v[90:91], v[241:242], v[38:39], -v[22:23]
	v_mul_f64_e32 v[22:23], v[241:242], v[40:41]
	v_dual_mov_b32 v252, v228 :: v_dual_mov_b32 v251, v227
	v_dual_mov_b32 v228, v185 :: v_dual_mov_b32 v227, v184
	;; [unrolled: 1-line block ×4, first 2 shown]
	v_fma_f64 v[210:211], v[20:21], v[38:39], v[22:23]
	ds_load_2addr_b64 v[22:25], v231 offset0:136 offset1:185
	s_wait_dscnt 0x0
	v_fma_f64 v[51:52], v[22:23], v[0:1], v[16:17]
	v_mul_f64_e32 v[20:21], v[24:25], v[148:149]
	v_fma_f64 v[18:19], v[24:25], v[146:147], v[18:19]
	v_mul_f64_e32 v[24:25], v[22:23], v[2:3]
	v_dual_mov_b32 v150, v142 :: v_dual_mov_b32 v149, v141
	v_dual_mov_b32 v184, v210 :: v_dual_mov_b32 v185, v211
	;; [unrolled: 1-line block ×3, first 2 shown]
	ds_load_2addr_b64 v[100:103], v231 offset0:38 offset1:87
	v_fma_f64 v[204:205], v[116:117], v[0:1], -v[24:25]
	v_fma_f64 v[20:21], v[118:119], v[146:147], -v[20:21]
	v_dual_mov_b32 v145, v180 :: v_dual_mov_b32 v146, v181
	v_dual_mov_b32 v148, v135 :: v_dual_mov_b32 v147, v134
	v_add_f64_e32 v[116:117], v[18:19], v[72:73]
	v_add_f64_e32 v[118:119], v[84:85], v[88:89]
	s_wait_dscnt 0x0
	v_mul_f64_e32 v[16:17], v[102:103], v[2:3]
	s_wait_loadcnt 0x0
	v_mul_f64_e32 v[2:3], v[63:64], v[2:3]
	s_delay_alu instid0(VALU_DEP_2) | instskip(NEXT) | instid1(VALU_DEP_2)
	v_fma_f64 v[15:16], v[63:64], v[0:1], -v[16:17]
	v_fma_f64 v[24:25], v[102:103], v[0:1], v[2:3]
	v_add_f64_e32 v[0:1], v[69:70], v[4:5]
	v_dual_mov_b32 v69, v245 :: v_dual_mov_b32 v70, v246
	v_dual_mov_b32 v246, v159 :: v_dual_mov_b32 v245, v158
	;; [unrolled: 1-line block ×4, first 2 shown]
	s_clause 0x1
	scratch_store_b64 off, v[15:16], off offset:56
	scratch_store_b64 off, v[24:25], off offset:192
	v_add_f64_e32 v[2:3], v[15:16], v[6:7]
	v_add_f64_e32 v[16:17], v[106:107], v[13:14]
	v_add_f64_e64 v[34:35], v[24:25], -v[10:11]
	v_add_f64_e64 v[14:15], v[180:181], -v[134:135]
	v_dual_mov_b32 v180, v77 :: v_dual_mov_b32 v179, v76
	v_dual_mov_b32 v76, v232 :: v_dual_mov_b32 v77, v233
	v_lshl_add_u32 v139, v86, 3, 0
	v_dual_mov_b32 v140, v115 :: v_dual_mov_b32 v233, v75
	v_mov_b32_e32 v232, v74
	v_dual_mov_b32 v74, v194 :: v_dual_mov_b32 v75, v195
	v_dual_mov_b32 v194, v229 :: v_dual_mov_b32 v195, v230
	;; [unrolled: 1-line block ×3, first 2 shown]
	v_lshl_add_u32 v176, v68, 3, 0
	s_delay_alu instid0(VALU_DEP_1) | instskip(SKIP_4) | instid1(VALU_DEP_3)
	v_add_nc_u32_e32 v138, 0x2800, v176
	v_add_nc_u32_e32 v68, 0x3000, v176
	v_add_f64_e64 v[36:37], v[2:3], -v[0:1]
	v_add_f64_e32 v[6:7], v[16:17], v[2:3]
	v_add_f64_e64 v[22:23], v[0:1], -v[16:17]
	v_mul_f64_e32 v[36:37], s[16:17], v[36:37]
	s_delay_alu instid0(VALU_DEP_3)
	v_add_f64_e32 v[6:7], v[0:1], v[6:7]
	v_add_f64_e64 v[0:1], v[8:9], -v[44:45]
	scratch_load_b128 v[8:11], off, off offset:128 th:TH_LOAD_LU ; 16-byte Folded Reload
	ds_load_2addr_b64 v[96:99], v255 offset1:49
	ds_load_2addr_b64 v[106:109], v255 offset0:98 offset1:147
	ds_load_2addr_b64 v[102:105], v255 offset0:196 offset1:245
	global_wb scope:SCOPE_SE
	s_wait_storecnt 0x0
	s_wait_loadcnt_dscnt 0x0
	s_barrier_signal -1
	s_barrier_wait -1
	global_inv scope:SCOPE_SE
	scratch_load_b128 v[57:60], off, off offset:40 th:TH_LOAD_LU ; 16-byte Folded Reload
	v_dual_mov_b32 v44, v236 :: v_dual_mov_b32 v45, v237
	v_dual_mov_b32 v237, v235 :: v_dual_mov_b32 v236, v234
	v_mov_b32_e32 v235, v183
	scratch_load_b64 v[110:111], off, off offset:208 th:TH_LOAD_LU ; 8-byte Folded Reload
	v_dual_mov_b32 v234, v182 :: v_dual_mov_b32 v183, v95
	v_mov_b32_e32 v182, v94
	v_add_f64_e64 v[38:39], v[0:1], -v[26:27]
	v_add_f64_e32 v[24:25], v[0:1], v[26:27]
	v_add_f64_e64 v[28:29], v[34:35], -v[0:1]
	v_fma_f64 v[0:1], v[22:23], s[22:23], v[36:37]
	s_delay_alu instid0(VALU_DEP_4) | instskip(NEXT) | instid1(VALU_DEP_4)
	v_mul_f64_e32 v[38:39], s[20:21], v[38:39]
	v_add_f64_e32 v[24:25], v[24:25], v[34:35]
	v_add_f64_e32 v[46:47], v[8:9], v[6:7]
	s_delay_alu instid0(VALU_DEP_1) | instskip(SKIP_1) | instid1(VALU_DEP_2)
	v_fma_f64 v[12:13], v[6:7], s[18:19], v[46:47]
	v_mul_f64_e32 v[6:7], s[22:23], v[22:23]
	v_add_f64_e32 v[40:41], v[0:1], v[12:13]
	v_fma_f64 v[0:1], v[28:29], s[10:11], v[38:39]
	s_delay_alu instid0(VALU_DEP_1) | instskip(NEXT) | instid1(VALU_DEP_1)
	v_fma_f64 v[48:49], v[24:25], s[0:1], v[0:1]
	v_add_f64_e32 v[0:1], v[48:49], v[40:41]
	ds_store_2addr_b64 v255, v[46:47], v[0:1] offset1:49
	v_add_f64_e64 v[0:1], v[16:17], -v[2:3]
	v_add_f64_e64 v[2:3], v[26:27], -v[34:35]
	v_add_f64_e64 v[26:27], v[51:52], -v[217:218]
	s_delay_alu instid0(VALU_DEP_3) | instskip(NEXT) | instid1(VALU_DEP_3)
	v_fma_f64 v[6:7], v[0:1], s[14:15], -v[6:7]
	v_mul_f64_e32 v[16:17], s[6:7], v[2:3]
	v_fma_f64 v[0:1], v[0:1], s[12:13], -v[36:37]
	v_fma_f64 v[2:3], v[2:3], s[6:7], -v[38:39]
	s_delay_alu instid0(VALU_DEP_4) | instskip(NEXT) | instid1(VALU_DEP_4)
	v_add_f64_e32 v[6:7], v[6:7], v[12:13]
	v_fma_f64 v[16:17], v[28:29], s[2:3], -v[16:17]
	s_delay_alu instid0(VALU_DEP_4) | instskip(NEXT) | instid1(VALU_DEP_4)
	v_add_f64_e32 v[0:1], v[0:1], v[12:13]
	v_fma_f64 v[2:3], v[24:25], s[0:1], v[2:3]
	s_delay_alu instid0(VALU_DEP_3) | instskip(SKIP_1) | instid1(VALU_DEP_3)
	v_fma_f64 v[12:13], v[24:25], s[0:1], v[16:17]
	v_add_f64_e64 v[24:25], v[213:214], -v[141:142]
	v_add_f64_e64 v[22:23], v[6:7], -v[2:3]
	v_add_f64_e32 v[2:3], v[2:3], v[6:7]
	v_add_f64_e32 v[6:7], v[253:254], v[223:224]
	v_dual_mov_b32 v141, v213 :: v_dual_mov_b32 v142, v214
	v_add_f64_e32 v[16:17], v[12:13], v[0:1]
	v_add_f64_e64 v[0:1], v[0:1], -v[12:13]
	v_add_f64_e32 v[12:13], v[238:239], v[154:155]
	v_add_f64_e32 v[28:29], v[24:25], v[14:15]
	v_add_f64_e64 v[34:35], v[24:25], -v[14:15]
	v_add_f64_e64 v[14:15], v[14:15], -v[26:27]
	;; [unrolled: 1-line block ×3, first 2 shown]
	ds_store_2addr_b64 v255, v[16:17], v[22:23] offset0:98 offset1:147
	ds_store_2addr_b64 v255, v[2:3], v[0:1] offset0:196 offset1:245
	v_add_f64_e32 v[2:3], v[204:205], v[200:201]
	v_add_f64_e64 v[0:1], v[40:41], -v[48:49]
	v_add_f64_e32 v[26:27], v[28:29], v[26:27]
	v_mul_f64_e32 v[28:29], s[6:7], v[14:15]
	s_delay_alu instid0(VALU_DEP_4)
	v_add_f64_e32 v[16:17], v[6:7], v[2:3]
	v_add_f64_e64 v[22:23], v[6:7], -v[2:3]
	v_add_f64_e64 v[2:3], v[2:3], -v[12:13]
	;; [unrolled: 1-line block ×3, first 2 shown]
	v_fma_f64 v[28:29], v[24:25], s[2:3], -v[28:29]
	v_add_f64_e32 v[16:17], v[12:13], v[16:17]
	s_delay_alu instid0(VALU_DEP_4) | instskip(NEXT) | instid1(VALU_DEP_3)
	v_mul_f64_e32 v[2:3], s[16:17], v[2:3]
	v_fma_f64 v[28:29], v[26:27], s[0:1], v[28:29]
	s_delay_alu instid0(VALU_DEP_3)
	v_add_f64_e32 v[12:13], v[10:11], v[16:17]
	scratch_load_b128 v[8:11], off, off offset:80 th:TH_LOAD_LU ; 16-byte Folded Reload
	ds_store_2addr_b64 v231, v[0:1], v[12:13] offset0:38 offset1:87
	v_fma_f64 v[0:1], v[16:17], s[18:19], v[12:13]
	v_mul_f64_e32 v[12:13], s[20:21], v[34:35]
	v_fma_f64 v[16:17], v[6:7], s[22:23], v[2:3]
	v_mul_f64_e32 v[6:7], s[22:23], v[6:7]
	v_fma_f64 v[2:3], v[22:23], s[12:13], -v[2:3]
	s_delay_alu instid0(VALU_DEP_4) | instskip(SKIP_1) | instid1(VALU_DEP_4)
	v_fma_f64 v[24:25], v[24:25], s[10:11], v[12:13]
	v_fma_f64 v[12:13], v[14:15], s[6:7], -v[12:13]
	v_fma_f64 v[6:7], v[22:23], s[14:15], -v[6:7]
	v_add_f64_e32 v[16:17], v[16:17], v[0:1]
	v_add_f64_e32 v[2:3], v[2:3], v[0:1]
	v_add_f64_e64 v[22:23], v[80:81], -v[42:43]
	v_fma_f64 v[24:25], v[26:27], s[0:1], v[24:25]
	v_add_f64_e32 v[0:1], v[6:7], v[0:1]
	v_fma_f64 v[6:7], v[26:27], s[0:1], v[12:13]
	v_add_f64_e32 v[36:37], v[28:29], v[2:3]
	s_delay_alu instid0(VALU_DEP_4) | instskip(NEXT) | instid1(VALU_DEP_3)
	v_add_f64_e32 v[34:35], v[24:25], v[16:17]
	v_add_f64_e64 v[12:13], v[0:1], -v[6:7]
	v_add_f64_e32 v[0:1], v[6:7], v[0:1]
	v_add_f64_e32 v[6:7], v[219:220], v[82:83]
	ds_store_2addr_b64 v231, v[34:35], v[36:37] offset0:136 offset1:185
	ds_store_2addr_b64 v115, v[12:13], v[0:1] offset0:106 offset1:155
	v_add_f64_e64 v[0:1], v[2:3], -v[28:29]
	v_add_f64_e64 v[2:3], v[16:17], -v[24:25]
	;; [unrolled: 1-line block ×4, first 2 shown]
	v_lshl_add_u32 v115, v87, 3, 0
	v_mov_b32_e32 v134, v217
	v_dual_mov_b32 v86, v198 :: v_dual_mov_b32 v87, v199
	v_mov_b32_e32 v135, v218
	s_delay_alu instid0(VALU_DEP_4)
	v_dual_mov_b32 v72, v67 :: v_dual_add_nc_u32 v181, 0x1800, v115
	ds_store_2addr_b64 v190, v[0:1], v[2:3] offset0:76 offset1:125
	v_add_f64_e32 v[0:1], v[20:21], v[78:79]
	v_add_f64_e32 v[2:3], v[164:165], v[136:137]
	v_add_f64_e64 v[28:29], v[22:23], -v[16:17]
	v_add_f64_e32 v[26:27], v[22:23], v[16:17]
	v_add_f64_e64 v[22:23], v[24:25], -v[22:23]
	v_add_f64_e64 v[14:15], v[0:1], -v[6:7]
	v_add_f64_e32 v[12:13], v[2:3], v[0:1]
	v_mul_f64_e32 v[28:29], s[20:21], v[28:29]
	v_add_f64_e32 v[26:27], v[26:27], v[24:25]
	v_add_f64_e64 v[0:1], v[2:3], -v[0:1]
	v_mul_f64_e32 v[14:15], s[16:17], v[14:15]
	v_add_f64_e32 v[12:13], v[6:7], v[12:13]
	v_add_f64_e64 v[6:7], v[6:7], -v[2:3]
	v_add_f64_e64 v[2:3], v[16:17], -v[24:25]
	;; [unrolled: 1-line block ×3, first 2 shown]
	s_wait_loadcnt 0x0
	s_delay_alu instid0(VALU_DEP_4) | instskip(NEXT) | instid1(VALU_DEP_1)
	v_add_f64_e32 v[8:9], v[8:9], v[12:13]
	v_fma_f64 v[34:35], v[12:13], s[18:19], v[8:9]
	v_fma_f64 v[12:13], v[6:7], s[22:23], v[14:15]
	v_mul_f64_e32 v[6:7], s[22:23], v[6:7]
	s_delay_alu instid0(VALU_DEP_2) | instskip(SKIP_1) | instid1(VALU_DEP_3)
	v_add_f64_e32 v[36:37], v[12:13], v[34:35]
	v_fma_f64 v[12:13], v[22:23], s[10:11], v[28:29]
	v_fma_f64 v[6:7], v[0:1], s[14:15], -v[6:7]
	v_fma_f64 v[0:1], v[0:1], s[12:13], -v[14:15]
	s_delay_alu instid0(VALU_DEP_3) | instskip(SKIP_1) | instid1(VALU_DEP_4)
	v_fma_f64 v[38:39], v[26:27], s[0:1], v[12:13]
	v_add_nc_u32_e32 v12, 0x1000, v115
	v_add_f64_e32 v[6:7], v[6:7], v[34:35]
	s_delay_alu instid0(VALU_DEP_4) | instskip(NEXT) | instid1(VALU_DEP_4)
	v_add_f64_e32 v[0:1], v[0:1], v[34:35]
	v_add_f64_e32 v[40:41], v[38:39], v[36:37]
	ds_store_2addr_b64 v12, v[8:9], v[40:41] offset0:174 offset1:223
	v_mul_f64_e32 v[8:9], s[6:7], v[2:3]
	v_fma_f64 v[2:3], v[2:3], s[6:7], -v[28:29]
	s_delay_alu instid0(VALU_DEP_2) | instskip(NEXT) | instid1(VALU_DEP_2)
	v_fma_f64 v[8:9], v[22:23], s[2:3], -v[8:9]
	v_fma_f64 v[2:3], v[26:27], s[0:1], v[2:3]
	v_add_f64_e64 v[22:23], v[124:125], -v[76:77]
	s_delay_alu instid0(VALU_DEP_3) | instskip(NEXT) | instid1(VALU_DEP_3)
	v_fma_f64 v[8:9], v[26:27], s[0:1], v[8:9]
	v_add_f64_e64 v[15:16], v[6:7], -v[2:3]
	v_add_f64_e32 v[2:3], v[2:3], v[6:7]
	v_add_f64_e32 v[6:7], v[113:114], v[44:45]
	s_delay_alu instid0(VALU_DEP_4)
	v_add_f64_e32 v[13:14], v[8:9], v[0:1]
	v_add_f64_e64 v[0:1], v[0:1], -v[8:9]
	ds_store_2addr_b64 v181, v[13:14], v[15:16] offset0:16 offset1:65
	ds_store_2addr_b64 v181, v[2:3], v[0:1] offset0:114 offset1:163
	v_add_f64_e32 v[0:1], v[179:180], v[247:248]
	v_add_f64_e32 v[2:3], v[69:70], v[126:127]
	s_delay_alu instid0(VALU_DEP_2) | instskip(NEXT) | instid1(VALU_DEP_2)
	v_add_f64_e32 v[8:9], v[6:7], v[0:1]
	v_add_f64_e64 v[13:14], v[0:1], -v[2:3]
	v_add_f64_e64 v[15:16], v[2:3], -v[6:7]
	;; [unrolled: 1-line block ×4, first 2 shown]
	v_add_f64_e32 v[8:9], v[2:3], v[8:9]
	v_add_f64_e64 v[2:3], v[30:31], -v[232:233]
	v_mul_f64_e32 v[13:14], s[16:17], v[13:14]
	s_delay_alu instid0(VALU_DEP_3) | instskip(NEXT) | instid1(VALU_DEP_3)
	v_add_f64_e32 v[10:11], v[10:11], v[8:9]
	v_add_f64_e64 v[28:29], v[2:3], -v[22:23]
	v_add_f64_e32 v[26:27], v[2:3], v[22:23]
	v_add_f64_e64 v[34:35], v[24:25], -v[2:3]
	v_fma_f64 v[2:3], v[15:16], s[22:23], v[13:14]
	v_add_f64_e64 v[22:23], v[156:157], -v[241:242]
	v_fma_f64 v[8:9], v[8:9], s[18:19], v[10:11]
	v_mul_f64_e32 v[28:29], s[20:21], v[28:29]
	v_add_f64_e32 v[26:27], v[26:27], v[24:25]
	v_add_f64_e64 v[24:25], v[128:129], -v[236:237]
	s_delay_alu instid0(VALU_DEP_4) | instskip(NEXT) | instid1(VALU_DEP_4)
	v_add_f64_e32 v[40:41], v[2:3], v[8:9]
	v_fma_f64 v[2:3], v[34:35], s[10:11], v[28:29]
	s_delay_alu instid0(VALU_DEP_1) | instskip(SKIP_2) | instid1(VALU_DEP_1)
	v_fma_f64 v[46:47], v[26:27], s[0:1], v[2:3]
	v_add_nc_u32_e32 v3, 0x2000, v139
	v_lshl_add_u32 v2, v56, 3, 0
	v_add_nc_u32_e32 v240, 0x3000, v2
	s_delay_alu instid0(VALU_DEP_4) | instskip(SKIP_2) | instid1(VALU_DEP_1)
	v_add_f64_e32 v[48:49], v[46:47], v[40:41]
	ds_store_2addr_b64 v3, v[10:11], v[48:49] offset0:5 offset1:54
	v_mul_f64_e32 v[10:11], s[22:23], v[15:16]
	v_fma_f64 v[10:11], v[0:1], s[14:15], -v[10:11]
	v_fma_f64 v[0:1], v[0:1], s[12:13], -v[13:14]
	v_mul_f64_e32 v[13:14], s[6:7], v[6:7]
	v_fma_f64 v[6:7], v[6:7], s[6:7], -v[28:29]
	s_delay_alu instid0(VALU_DEP_4) | instskip(NEXT) | instid1(VALU_DEP_4)
	v_add_f64_e32 v[10:11], v[10:11], v[8:9]
	v_add_f64_e32 v[0:1], v[0:1], v[8:9]
	s_delay_alu instid0(VALU_DEP_4) | instskip(NEXT) | instid1(VALU_DEP_4)
	v_fma_f64 v[13:14], v[34:35], s[2:3], -v[13:14]
	v_fma_f64 v[6:7], v[26:27], s[0:1], v[6:7]
	s_delay_alu instid0(VALU_DEP_2) | instskip(NEXT) | instid1(VALU_DEP_2)
	v_fma_f64 v[8:9], v[26:27], s[0:1], v[13:14]
	v_add_f64_e64 v[15:16], v[10:11], -v[6:7]
	v_add_f64_e32 v[6:7], v[6:7], v[10:11]
	s_delay_alu instid0(VALU_DEP_3)
	v_add_f64_e32 v[13:14], v[8:9], v[0:1]
	v_add_f64_e64 v[0:1], v[0:1], -v[8:9]
	v_add_f64_e32 v[8:9], v[74:75], v[186:187]
	ds_store_2addr_b64 v3, v[13:14], v[15:16] offset0:103 offset1:152
	ds_store_2addr_b64 v3, v[6:7], v[0:1] offset0:201 offset1:250
	v_add_f64_e32 v[0:1], v[192:193], v[120:121]
	v_add_f64_e32 v[6:7], v[160:161], v[208:209]
	v_add_f64_e64 v[15:16], v[130:131], -v[251:252]
	s_delay_alu instid0(VALU_DEP_3) | instskip(NEXT) | instid1(VALU_DEP_3)
	v_add_f64_e64 v[13:14], v[0:1], -v[8:9]
	v_add_f64_e32 v[10:11], v[6:7], v[0:1]
	s_delay_alu instid0(VALU_DEP_3)
	v_add_f64_e64 v[28:29], v[22:23], -v[15:16]
	v_add_f64_e64 v[0:1], v[6:7], -v[0:1]
	v_add_f64_e32 v[26:27], v[22:23], v[15:16]
	v_add_f64_e64 v[22:23], v[24:25], -v[22:23]
	v_mul_f64_e32 v[13:14], s[16:17], v[13:14]
	v_add_f64_e32 v[10:11], v[8:9], v[10:11]
	v_add_f64_e64 v[8:9], v[8:9], -v[6:7]
	v_add_f64_e64 v[6:7], v[15:16], -v[24:25]
	v_mul_f64_e32 v[28:29], s[20:21], v[28:29]
	v_add_f64_e32 v[26:27], v[26:27], v[24:25]
	v_add_f64_e64 v[24:25], v[249:250], -v[225:226]
	v_add_f64_e32 v[34:35], v[57:58], v[10:11]
	v_fma_f64 v[48:49], v[8:9], s[22:23], v[13:14]
	v_mul_f64_e32 v[8:9], s[22:23], v[8:9]
	v_fma_f64 v[51:52], v[22:23], s[10:11], v[28:29]
	s_delay_alu instid0(VALU_DEP_4) | instskip(NEXT) | instid1(VALU_DEP_3)
	v_fma_f64 v[10:11], v[10:11], s[18:19], v[34:35]
	v_fma_f64 v[8:9], v[0:1], s[14:15], -v[8:9]
	v_fma_f64 v[0:1], v[0:1], s[12:13], -v[13:14]
	v_mul_f64_e32 v[13:14], s[6:7], v[6:7]
	v_fma_f64 v[6:7], v[6:7], s[6:7], -v[28:29]
	v_fma_f64 v[51:52], v[26:27], s[0:1], v[51:52]
	v_add_f64_e64 v[28:29], v[166:167], -v[158:159]
	v_add_f64_e32 v[48:49], v[48:49], v[10:11]
	v_add_f64_e32 v[8:9], v[8:9], v[10:11]
	;; [unrolled: 1-line block ×3, first 2 shown]
	v_fma_f64 v[13:14], v[22:23], s[2:3], -v[13:14]
	v_fma_f64 v[6:7], v[26:27], s[0:1], v[6:7]
	v_add_f64_e32 v[53:54], v[51:52], v[48:49]
	s_delay_alu instid0(VALU_DEP_3) | instskip(NEXT) | instid1(VALU_DEP_3)
	v_fma_f64 v[10:11], v[26:27], s[0:1], v[13:14]
	v_add_f64_e64 v[15:16], v[8:9], -v[6:7]
	v_add_f64_e32 v[6:7], v[6:7], v[8:9]
	v_add_f64_e32 v[8:9], v[86:87], v[227:228]
	v_add_f64_e64 v[26:27], v[229:230], -v[206:207]
	ds_store_2addr_b64 v138, v[34:35], v[53:54] offset0:92 offset1:141
	v_add_f64_e32 v[13:14], v[10:11], v[0:1]
	v_add_f64_e64 v[0:1], v[0:1], -v[10:11]
	v_add_f64_e64 v[53:54], v[26:27], -v[24:25]
	v_add_f64_e32 v[34:35], v[26:27], v[24:25]
	v_add_f64_e64 v[26:27], v[28:29], -v[26:27]
	ds_store_2addr_b64 v138, v[13:14], v[15:16] offset0:190 offset1:239
	v_dual_mov_b32 v14, v221 :: v_dual_mov_b32 v15, v222
	ds_store_2addr_b64 v68, v[6:7], v[0:1] offset0:32 offset1:81
	v_add_f64_e32 v[0:1], v[32:33], v[162:163]
	v_mul_f64_e32 v[53:54], s[20:21], v[53:54]
	v_add_f64_e32 v[34:35], v[34:35], v[28:29]
	v_add_f64_e32 v[6:7], v[194:195], v[14:15]
	v_add_nc_u32_e32 v13, 0x3800, v2
	v_add_f64_e64 v[22:23], v[0:1], -v[8:9]
	s_delay_alu instid0(VALU_DEP_3) | instskip(SKIP_1) | instid1(VALU_DEP_3)
	v_add_f64_e32 v[10:11], v[6:7], v[0:1]
	v_add_f64_e64 v[0:1], v[6:7], -v[0:1]
	v_mul_f64_e32 v[22:23], s[16:17], v[22:23]
	s_delay_alu instid0(VALU_DEP_3) | instskip(SKIP_3) | instid1(VALU_DEP_4)
	v_add_f64_e32 v[10:11], v[8:9], v[10:11]
	v_add_f64_e64 v[8:9], v[8:9], -v[6:7]
	v_add_f64_e64 v[6:7], v[24:25], -v[28:29]
	v_add_f64_e64 v[24:25], v[234:235], -v[177:178]
	v_add_f64_e32 v[16:17], v[59:60], v[10:11]
	s_delay_alu instid0(VALU_DEP_4) | instskip(SKIP_2) | instid1(VALU_DEP_4)
	v_fma_f64 v[57:58], v[8:9], s[22:23], v[22:23]
	v_fma_f64 v[59:60], v[26:27], s[10:11], v[53:54]
	v_mul_f64_e32 v[8:9], s[22:23], v[8:9]
	v_fma_f64 v[10:11], v[10:11], s[18:19], v[16:17]
	s_delay_alu instid0(VALU_DEP_3) | instskip(NEXT) | instid1(VALU_DEP_3)
	v_fma_f64 v[59:60], v[34:35], s[0:1], v[59:60]
	v_fma_f64 v[8:9], v[0:1], s[14:15], -v[8:9]
	v_fma_f64 v[0:1], v[0:1], s[12:13], -v[22:23]
	s_delay_alu instid0(VALU_DEP_4) | instskip(NEXT) | instid1(VALU_DEP_3)
	v_add_f64_e32 v[57:58], v[57:58], v[10:11]
	v_add_f64_e32 v[8:9], v[8:9], v[10:11]
	s_delay_alu instid0(VALU_DEP_3) | instskip(NEXT) | instid1(VALU_DEP_3)
	v_add_f64_e32 v[0:1], v[0:1], v[10:11]
	v_add_f64_e32 v[55:56], v[59:60], v[57:58]
	ds_store_2addr_b64 v240, v[16:17], v[55:56] offset0:179 offset1:228
	v_mul_f64_e32 v[16:17], s[6:7], v[6:7]
	v_fma_f64 v[6:7], v[6:7], s[6:7], -v[53:54]
	s_delay_alu instid0(VALU_DEP_2) | instskip(NEXT) | instid1(VALU_DEP_2)
	v_fma_f64 v[16:17], v[26:27], s[2:3], -v[16:17]
	v_fma_f64 v[6:7], v[34:35], s[0:1], v[6:7]
	v_add_f64_e64 v[26:27], v[110:111], -v[184:185]
	s_delay_alu instid0(VALU_DEP_3) | instskip(NEXT) | instid1(VALU_DEP_3)
	v_fma_f64 v[10:11], v[34:35], s[0:1], v[16:17]
	v_add_f64_e64 v[22:23], v[8:9], -v[6:7]
	v_add_f64_e32 v[6:7], v[6:7], v[8:9]
	v_add_f64_e32 v[8:9], v[243:244], v[170:171]
	s_delay_alu instid0(VALU_DEP_4)
	v_add_f64_e32 v[16:17], v[10:11], v[0:1]
	v_add_f64_e64 v[0:1], v[0:1], -v[10:11]
	ds_store_2addr_b64 v13, v[16:17], v[22:23] offset0:21 offset1:70
	ds_store_2addr_b64 v13, v[6:7], v[0:1] offset0:119 offset1:168
	v_add_f64_e32 v[6:7], v[188:189], v[143:144]
	v_add_f64_e32 v[0:1], v[168:169], v[132:133]
	s_delay_alu instid0(VALU_DEP_2) | instskip(NEXT) | instid1(VALU_DEP_2)
	v_add_f64_e32 v[10:11], v[8:9], v[6:7]
	v_add_f64_e64 v[16:17], v[6:7], -v[0:1]
	v_add_f64_e64 v[22:23], v[0:1], -v[8:9]
	s_delay_alu instid0(VALU_DEP_3) | instskip(SKIP_1) | instid1(VALU_DEP_4)
	v_add_f64_e32 v[10:11], v[0:1], v[10:11]
	v_add_f64_e64 v[0:1], v[182:183], -v[122:123]
	v_mul_f64_e32 v[16:17], s[16:17], v[16:17]
	s_delay_alu instid0(VALU_DEP_3) | instskip(NEXT) | instid1(VALU_DEP_3)
	v_add_f64_e32 v[4:5], v[61:62], v[10:11]
	v_add_f64_e64 v[34:35], v[0:1], -v[24:25]
	v_add_f64_e32 v[28:29], v[0:1], v[24:25]
	v_add_f64_e64 v[53:54], v[26:27], -v[0:1]
	v_fma_f64 v[0:1], v[22:23], s[22:23], v[16:17]
	v_fma_f64 v[10:11], v[10:11], s[18:19], v[4:5]
	v_mul_f64_e32 v[34:35], s[20:21], v[34:35]
	v_add_f64_e32 v[28:29], v[28:29], v[26:27]
	s_delay_alu instid0(VALU_DEP_3) | instskip(NEXT) | instid1(VALU_DEP_3)
	v_add_f64_e32 v[55:56], v[0:1], v[10:11]
	v_fma_f64 v[0:1], v[53:54], s[10:11], v[34:35]
	s_delay_alu instid0(VALU_DEP_1) | instskip(SKIP_1) | instid1(VALU_DEP_1)
	v_fma_f64 v[61:62], v[28:29], s[0:1], v[0:1]
	v_lshl_add_u32 v0, v50, 3, 0
	v_add_nc_u32_e32 v1, 0x4000, v0
	s_delay_alu instid0(VALU_DEP_3) | instskip(SKIP_4) | instid1(VALU_DEP_1)
	v_add_f64_e32 v[63:64], v[61:62], v[55:56]
	ds_store_2addr_b64 v1, v[4:5], v[63:64] offset0:10 offset1:59
	v_add_f64_e64 v[4:5], v[8:9], -v[6:7]
	v_add_f64_e64 v[6:7], v[24:25], -v[26:27]
	v_mul_f64_e32 v[8:9], s[22:23], v[22:23]
	v_fma_f64 v[8:9], v[4:5], s[14:15], -v[8:9]
	v_fma_f64 v[4:5], v[4:5], s[12:13], -v[16:17]
	s_delay_alu instid0(VALU_DEP_4) | instskip(SKIP_1) | instid1(VALU_DEP_4)
	v_mul_f64_e32 v[16:17], s[6:7], v[6:7]
	v_fma_f64 v[6:7], v[6:7], s[6:7], -v[34:35]
	v_add_f64_e32 v[8:9], v[8:9], v[10:11]
	s_delay_alu instid0(VALU_DEP_4) | instskip(NEXT) | instid1(VALU_DEP_4)
	v_add_f64_e32 v[4:5], v[4:5], v[10:11]
	v_fma_f64 v[16:17], v[53:54], s[2:3], -v[16:17]
	s_delay_alu instid0(VALU_DEP_4) | instskip(NEXT) | instid1(VALU_DEP_2)
	v_fma_f64 v[6:7], v[28:29], s[0:1], v[6:7]
	v_fma_f64 v[10:11], v[28:29], s[0:1], v[16:17]
	s_delay_alu instid0(VALU_DEP_2)
	v_add_f64_e64 v[22:23], v[8:9], -v[6:7]
	v_add_f64_e32 v[6:7], v[6:7], v[8:9]
	v_add_f64_e64 v[8:9], v[48:49], -v[51:52]
	v_add_nc_u32_e32 v48, 0x2800, v255
	v_add_f64_e32 v[16:17], v[10:11], v[4:5]
	v_add_f64_e64 v[4:5], v[4:5], -v[10:11]
	v_add_f64_e64 v[10:11], v[57:58], -v[59:60]
	ds_store_2addr_b64 v1, v[16:17], v[22:23] offset0:108 offset1:157
	ds_store_2addr_b64 v1, v[6:7], v[4:5] offset0:206 offset1:255
	v_add_f64_e64 v[4:5], v[36:37], -v[38:39]
	v_add_f64_e64 v[6:7], v[40:41], -v[46:47]
	;; [unrolled: 1-line block ×3, first 2 shown]
	ds_store_b64 v115, v[4:5] offset:7840
	ds_store_b64 v139, v[6:7] offset:10584
	;; [unrolled: 1-line block ×5, first 2 shown]
	v_add_f64_e32 v[8:9], v[42:43], v[80:81]
	v_add_f64_e32 v[16:17], v[118:119], v[116:117]
	v_add_f64_e64 v[6:7], v[164:165], -v[136:137]
	v_add_f64_e64 v[10:11], v[82:83], -v[219:220]
	;; [unrolled: 1-line block ×3, first 2 shown]
	global_wb scope:SCOPE_SE
	s_wait_dscnt 0x0
	s_barrier_signal -1
	s_barrier_wait -1
	global_inv scope:SCOPE_SE
	ds_load_2addr_b64 v[88:91], v66 offset0:84 offset1:133
	v_add_f64_e64 v[18:19], v[116:117], -v[8:9]
	v_add_f64_e32 v[16:17], v[8:9], v[16:17]
	v_add_f64_e64 v[8:9], v[8:9], -v[118:119]
	v_add_f64_e64 v[22:23], v[10:11], -v[6:7]
	v_add_f64_e32 v[20:21], v[10:11], v[6:7]
	v_add_f64_e64 v[10:11], v[4:5], -v[10:11]
	v_mul_f64_e32 v[213:214], s[16:17], v[18:19]
	v_add_f64_e32 v[106:107], v[106:107], v[16:17]
	v_mul_f64_e32 v[215:216], s[20:21], v[22:23]
	v_add_f64_e32 v[211:212], v[20:21], v[4:5]
	ds_load_2addr_b64 v[20:23], v48 offset0:92 offset1:141
	v_add_f64_e64 v[4:5], v[6:7], -v[4:5]
	v_mul_f64_e32 v[6:7], s[22:23], v[8:9]
	s_wait_dscnt 0x0
	scratch_store_b128 off, v[20:23], off offset:240 ; 16-byte Folded Spill
	v_fma_f64 v[217:218], v[16:17], s[18:19], v[106:107]
	v_fma_f64 v[16:17], v[8:9], s[22:23], v[213:214]
	s_delay_alu instid0(VALU_DEP_1) | instskip(SKIP_1) | instid1(VALU_DEP_1)
	v_add_f64_e32 v[219:220], v[16:17], v[217:218]
	v_fma_f64 v[16:17], v[10:11], s[10:11], v[215:216]
	v_fma_f64 v[221:222], v[211:212], s[0:1], v[16:17]
	ds_load_b64 v[16:17], v255 offset:18816
	s_wait_dscnt 0x0
	scratch_store_b64 off, v[16:17], off offset:144 ; 8-byte Folded Spill
	ds_load_2addr_b64 v[16:19], v255 offset1:49
	v_add_f64_e64 v[136:137], v[219:220], -v[221:222]
	s_wait_dscnt 0x0
	scratch_store_b128 off, v[16:19], off offset:40 ; 16-byte Folded Spill
	ds_load_2addr_b64 v[16:19], v231 offset0:38 offset1:87
	s_wait_dscnt 0x0
	scratch_store_b128 off, v[16:19], off offset:224 ; 16-byte Folded Spill
	ds_load_2addr_b64 v[16:19], v190 offset0:174 offset1:223
	;; [unrolled: 3-line block ×3, first 2 shown]
	ds_load_2addr_b64 v[16:19], v153 offset0:10 offset1:59
	ds_load_2addr_b64 v[26:29], v203 offset0:54 offset1:103
	;; [unrolled: 1-line block ×3, first 2 shown]
	s_wait_dscnt 0x2
	scratch_store_b128 off, v[16:19], off offset:288 ; 16-byte Folded Spill
	ds_load_2addr_b64 v[16:19], v231 offset0:136 offset1:185
	s_wait_dscnt 0x2
	scratch_store_b128 off, v[26:29], off offset:256 ; 16-byte Folded Spill
	s_wait_dscnt 0x1
	scratch_store_b128 off, v[40:43], off offset:80 ; 16-byte Folded Spill
	v_dual_mov_b32 v43, v202 :: v_dual_mov_b32 v42, v190
	s_wait_dscnt 0x0
	scratch_store_b128 off, v[16:19], off offset:304 ; 16-byte Folded Spill
	ds_load_2addr_b64 v[16:19], v65 offset0:100 offset1:149
	s_wait_dscnt 0x0
	scratch_store_b128 off, v[16:19], off offset:320 ; 16-byte Folded Spill
	ds_load_2addr_b64 v[16:19], v202 offset0:16 offset1:65
	;; [unrolled: 3-line block ×4, first 2 shown]
	ds_load_2addr_b64 v[60:63], v140 offset0:106 offset1:155
	ds_load_2addr_b64 v[16:19], v203 offset0:152 offset1:201
	;; [unrolled: 1-line block ×4, first 2 shown]
	s_wait_dscnt 0x0
	scratch_store_b128 off, v[64:67], off offset:128 ; 16-byte Folded Spill
	ds_load_2addr_b64 v[26:29], v202 offset0:114 offset1:163
	ds_load_2addr_b64 v[64:67], v72 offset0:32 offset1:81
	;; [unrolled: 1-line block ×6, first 2 shown]
	global_wb scope:SCOPE_SE
	s_wait_storecnt_dscnt 0x0
	s_barrier_signal -1
	s_barrier_wait -1
	global_inv scope:SCOPE_SE
	ds_store_2addr_b64 v12, v[106:107], v[136:137] offset0:174 offset1:223
	v_add_f64_e64 v[106:107], v[118:119], -v[116:117]
	s_delay_alu instid0(VALU_DEP_1) | instskip(SKIP_3) | instid1(VALU_DEP_4)
	v_fma_f64 v[6:7], v[106:107], s[14:15], -v[6:7]
	v_fma_f64 v[8:9], v[106:107], s[12:13], -v[213:214]
	;; [unrolled: 1-line block ×3, first 2 shown]
	v_mul_f64_e32 v[4:5], s[6:7], v[4:5]
	v_add_f64_e32 v[6:7], v[6:7], v[217:218]
	s_delay_alu instid0(VALU_DEP_4) | instskip(NEXT) | instid1(VALU_DEP_3)
	v_add_f64_e32 v[8:9], v[8:9], v[217:218]
	v_fma_f64 v[4:5], v[10:11], s[2:3], -v[4:5]
	v_fma_f64 v[10:11], v[211:212], s[0:1], v[106:107]
	s_delay_alu instid0(VALU_DEP_2) | instskip(NEXT) | instid1(VALU_DEP_2)
	v_fma_f64 v[4:5], v[211:212], s[0:1], v[4:5]
	v_add_f64_e32 v[106:107], v[10:11], v[6:7]
	v_add_f64_e64 v[6:7], v[6:7], -v[10:11]
	v_add_f64_e64 v[10:11], v[113:114], -v[44:45]
	s_delay_alu instid0(VALU_DEP_4)
	v_add_f64_e64 v[116:117], v[8:9], -v[4:5]
	v_add_f64_e32 v[4:5], v[4:5], v[8:9]
	v_add_f64_e64 v[8:9], v[179:180], -v[247:248]
	ds_store_2addr_b64 v181, v[116:117], v[106:107] offset0:16 offset1:65
	ds_store_2addr_b64 v181, v[6:7], v[4:5] offset0:114 offset1:163
	v_add_f64_e32 v[4:5], v[151:152], v[245:246]
	v_add_f64_e32 v[6:7], v[124:125], v[76:77]
	;; [unrolled: 1-line block ×3, first 2 shown]
	v_add_f64_e64 v[116:117], v[126:127], -v[69:70]
	s_delay_alu instid0(VALU_DEP_3) | instskip(NEXT) | instid1(VALU_DEP_3)
	v_add_f64_e32 v[118:119], v[6:7], v[4:5]
	v_add_f64_e64 v[126:127], v[4:5], -v[106:107]
	s_delay_alu instid0(VALU_DEP_3)
	v_add_f64_e64 v[152:153], v[116:117], -v[10:11]
	v_add_f64_e32 v[136:137], v[116:117], v[10:11]
	v_add_f64_e64 v[116:117], v[8:9], -v[116:117]
	v_add_f64_e64 v[4:5], v[6:7], -v[4:5]
	v_add_f64_e32 v[118:119], v[106:107], v[118:119]
	v_add_f64_e64 v[106:107], v[106:107], -v[6:7]
	v_mul_f64_e32 v[126:127], s[16:17], v[126:127]
	v_mul_f64_e32 v[152:153], s[20:21], v[152:153]
	v_add_f64_e64 v[6:7], v[10:11], -v[8:9]
	v_add_f64_e32 v[136:137], v[136:137], v[8:9]
	v_add_f64_e32 v[108:109], v[108:109], v[118:119]
	v_mul_f64_e32 v[8:9], s[22:23], v[106:107]
	v_fma_f64 v[164:165], v[106:107], s[22:23], v[126:127]
	v_fma_f64 v[172:173], v[116:117], s[10:11], v[152:153]
	v_fma_f64 v[10:11], v[6:7], s[6:7], -v[152:153]
	v_mul_f64_e32 v[6:7], s[6:7], v[6:7]
	v_fma_f64 v[118:119], v[118:119], s[18:19], v[108:109]
	v_fma_f64 v[8:9], v[4:5], s[14:15], -v[8:9]
	v_fma_f64 v[4:5], v[4:5], s[12:13], -v[126:127]
	v_fma_f64 v[172:173], v[136:137], s[0:1], v[172:173]
	v_fma_f64 v[10:11], v[136:137], s[0:1], v[10:11]
	v_fma_f64 v[6:7], v[116:117], s[2:3], -v[6:7]
	v_add_f64_e32 v[164:165], v[164:165], v[118:119]
	v_add_f64_e32 v[8:9], v[8:9], v[118:119]
	;; [unrolled: 1-line block ×3, first 2 shown]
	s_delay_alu instid0(VALU_DEP_4) | instskip(NEXT) | instid1(VALU_DEP_4)
	v_fma_f64 v[6:7], v[136:137], s[0:1], v[6:7]
	v_add_f64_e64 v[180:181], v[164:165], -v[172:173]
	s_delay_alu instid0(VALU_DEP_4)
	v_add_f64_e32 v[106:107], v[10:11], v[8:9]
	v_add_f64_e64 v[8:9], v[8:9], -v[10:11]
	v_add_f64_e32 v[11:12], v[241:242], v[156:157]
	ds_store_2addr_b64 v3, v[108:109], v[180:181] offset0:5 offset1:54
	v_add_f64_e64 v[108:109], v[4:5], -v[6:7]
	v_add_f64_e32 v[4:5], v[6:7], v[4:5]
	ds_store_2addr_b64 v3, v[108:109], v[106:107] offset0:103 offset1:152
	ds_store_2addr_b64 v3, v[8:9], v[4:5] offset0:201 offset1:250
	v_add_f64_e32 v[3:4], v[128:129], v[236:237]
	v_add_f64_e32 v[5:6], v[130:131], v[251:252]
	v_add_f64_e64 v[9:10], v[160:161], -v[208:209]
	v_add_f64_e64 v[106:107], v[186:187], -v[74:75]
	;; [unrolled: 1-line block ×4, first 2 shown]
	v_add_f64_e32 v[108:109], v[5:6], v[3:4]
	v_add_f64_e64 v[3:4], v[5:6], -v[3:4]
	v_add_f64_e64 v[118:119], v[106:107], -v[9:10]
	v_add_f64_e32 v[116:117], v[106:107], v[9:10]
	v_add_f64_e64 v[106:107], v[7:8], -v[106:107]
	v_mul_f64_e32 v[113:114], s[16:17], v[113:114]
	v_add_f64_e32 v[108:109], v[11:12], v[108:109]
	v_add_f64_e64 v[11:12], v[11:12], -v[5:6]
	v_mul_f64_e32 v[118:119], s[20:21], v[118:119]
	v_add_f64_e64 v[5:6], v[9:10], -v[7:8]
	v_add_f64_e32 v[116:117], v[116:117], v[7:8]
	v_add_f64_e32 v[102:103], v[102:103], v[108:109]
	v_fma_f64 v[124:125], v[11:12], s[22:23], v[113:114]
	v_fma_f64 v[126:127], v[106:107], s[10:11], v[118:119]
	v_mul_f64_e32 v[7:8], s[22:23], v[11:12]
	v_fma_f64 v[9:10], v[5:6], s[6:7], -v[118:119]
	v_mul_f64_e32 v[5:6], s[6:7], v[5:6]
	v_fma_f64 v[108:109], v[108:109], s[18:19], v[102:103]
	v_fma_f64 v[126:127], v[116:117], s[0:1], v[126:127]
	v_fma_f64 v[7:8], v[3:4], s[14:15], -v[7:8]
	v_fma_f64 v[3:4], v[3:4], s[12:13], -v[113:114]
	;; [unrolled: 1-line block ×3, first 2 shown]
	v_fma_f64 v[9:10], v[116:117], s[0:1], v[9:10]
	v_add_f64_e32 v[124:125], v[124:125], v[108:109]
	v_add_f64_e32 v[7:8], v[7:8], v[108:109]
	;; [unrolled: 1-line block ×3, first 2 shown]
	v_fma_f64 v[5:6], v[116:117], s[0:1], v[5:6]
	s_delay_alu instid0(VALU_DEP_4) | instskip(NEXT) | instid1(VALU_DEP_4)
	v_add_f64_e64 v[130:131], v[124:125], -v[126:127]
	v_add_f64_e32 v[11:12], v[9:10], v[7:8]
	v_add_f64_e64 v[7:8], v[7:8], -v[9:10]
	v_add_f64_e64 v[9:10], v[194:195], -v[14:15]
	ds_store_2addr_b64 v138, v[102:103], v[130:131] offset0:92 offset1:141
	v_add_f64_e64 v[102:103], v[3:4], -v[5:6]
	v_add_f64_e32 v[3:4], v[5:6], v[3:4]
	v_add_f64_e32 v[5:6], v[249:250], v[225:226]
	ds_store_2addr_b64 v138, v[102:103], v[11:12] offset0:190 offset1:239
	ds_store_2addr_b64 v68, v[7:8], v[3:4] offset0:32 offset1:81
	v_add_f64_e32 v[3:4], v[166:167], v[158:159]
	v_add_f64_e64 v[102:103], v[227:228], -v[86:87]
	v_add_f64_e64 v[7:8], v[32:33], -v[162:163]
	v_add_f64_e32 v[11:12], v[206:207], v[229:230]
	s_delay_alu instid0(VALU_DEP_4) | instskip(NEXT) | instid1(VALU_DEP_4)
	v_add_f64_e32 v[106:107], v[5:6], v[3:4]
	v_add_f64_e64 v[116:117], v[102:103], -v[9:10]
	v_add_f64_e32 v[113:114], v[102:103], v[9:10]
	s_delay_alu instid0(VALU_DEP_4)
	v_add_f64_e64 v[108:109], v[3:4], -v[11:12]
	v_add_f64_e64 v[3:4], v[5:6], -v[3:4]
	;; [unrolled: 1-line block ×3, first 2 shown]
	v_add_f64_e32 v[106:107], v[11:12], v[106:107]
	v_add_f64_e64 v[11:12], v[11:12], -v[5:6]
	v_mul_f64_e32 v[116:117], s[20:21], v[116:117]
	v_add_f64_e64 v[5:6], v[9:10], -v[7:8]
	v_mul_f64_e32 v[108:109], s[16:17], v[108:109]
	v_add_f64_e32 v[113:114], v[113:114], v[7:8]
	v_add_f64_e32 v[104:105], v[104:105], v[106:107]
	v_mul_f64_e32 v[7:8], s[22:23], v[11:12]
	v_fma_f64 v[128:129], v[102:103], s[10:11], v[116:117]
	v_fma_f64 v[9:10], v[5:6], s[6:7], -v[116:117]
	v_mul_f64_e32 v[5:6], s[6:7], v[5:6]
	v_fma_f64 v[118:119], v[11:12], s[22:23], v[108:109]
	v_fma_f64 v[106:107], v[106:107], s[18:19], v[104:105]
	v_fma_f64 v[7:8], v[3:4], s[14:15], -v[7:8]
	v_fma_f64 v[3:4], v[3:4], s[12:13], -v[108:109]
	v_fma_f64 v[9:10], v[113:114], s[0:1], v[9:10]
	v_fma_f64 v[5:6], v[102:103], s[2:3], -v[5:6]
	v_fma_f64 v[128:129], v[113:114], s[0:1], v[128:129]
	v_add_f64_e32 v[118:119], v[118:119], v[106:107]
	v_add_f64_e32 v[7:8], v[7:8], v[106:107]
	v_add_f64_e32 v[3:4], v[3:4], v[106:107]
	v_fma_f64 v[5:6], v[113:114], s[0:1], v[5:6]
	s_delay_alu instid0(VALU_DEP_4) | instskip(NEXT) | instid1(VALU_DEP_4)
	v_add_f64_e64 v[130:131], v[118:119], -v[128:129]
	v_add_f64_e32 v[11:12], v[9:10], v[7:8]
	v_add_f64_e64 v[7:8], v[7:8], -v[9:10]
	v_add_f64_e64 v[9:10], v[243:244], -v[170:171]
	;; [unrolled: 1-line block ×3, first 2 shown]
	v_add_f64_e32 v[3:4], v[5:6], v[3:4]
	v_add_f64_e32 v[5:6], v[234:235], v[177:178]
	ds_store_2addr_b64 v240, v[104:105], v[130:131] offset0:179 offset1:228
	ds_store_2addr_b64 v13, v[14:15], v[11:12] offset0:21 offset1:70
	;; [unrolled: 1-line block ×3, first 2 shown]
	v_add_f64_e32 v[3:4], v[110:111], v[184:185]
	v_add_f64_e64 v[13:14], v[132:133], -v[168:169]
	v_add_f64_e64 v[7:8], v[188:189], -v[143:144]
	v_add_f64_e32 v[11:12], v[122:123], v[182:183]
	s_delay_alu instid0(VALU_DEP_4) | instskip(NEXT) | instid1(VALU_DEP_4)
	v_add_f64_e32 v[102:103], v[5:6], v[3:4]
	v_add_f64_e64 v[108:109], v[13:14], -v[9:10]
	v_add_f64_e32 v[106:107], v[13:14], v[9:10]
	s_delay_alu instid0(VALU_DEP_4)
	v_add_f64_e64 v[104:105], v[3:4], -v[11:12]
	v_add_f64_e64 v[3:4], v[5:6], -v[3:4]
	v_add_f64_e64 v[13:14], v[7:8], -v[13:14]
	v_add_f64_e32 v[102:103], v[11:12], v[102:103]
	v_add_f64_e64 v[11:12], v[11:12], -v[5:6]
	v_mul_f64_e32 v[108:109], s[20:21], v[108:109]
	v_add_f64_e64 v[5:6], v[9:10], -v[7:8]
	v_mul_f64_e32 v[104:105], s[16:17], v[104:105]
	v_add_f64_e32 v[106:107], v[106:107], v[7:8]
	v_add_f64_e32 v[100:101], v[100:101], v[102:103]
	v_mul_f64_e32 v[7:8], s[22:23], v[11:12]
	v_fma_f64 v[113:114], v[13:14], s[10:11], v[108:109]
	v_fma_f64 v[9:10], v[5:6], s[6:7], -v[108:109]
	v_mul_f64_e32 v[5:6], s[6:7], v[5:6]
	v_fma_f64 v[110:111], v[11:12], s[22:23], v[104:105]
	v_fma_f64 v[102:103], v[102:103], s[18:19], v[100:101]
	v_fma_f64 v[7:8], v[3:4], s[14:15], -v[7:8]
	v_fma_f64 v[3:4], v[3:4], s[12:13], -v[104:105]
	v_fma_f64 v[113:114], v[106:107], s[0:1], v[113:114]
	v_fma_f64 v[5:6], v[13:14], s[2:3], -v[5:6]
	v_fma_f64 v[9:10], v[106:107], s[0:1], v[9:10]
	v_add_f64_e32 v[110:111], v[110:111], v[102:103]
	v_add_f64_e32 v[7:8], v[7:8], v[102:103]
	;; [unrolled: 1-line block ×3, first 2 shown]
	v_fma_f64 v[5:6], v[106:107], s[0:1], v[5:6]
	s_delay_alu instid0(VALU_DEP_4) | instskip(NEXT) | instid1(VALU_DEP_4)
	v_add_f64_e64 v[116:117], v[110:111], -v[113:114]
	v_add_f64_e32 v[11:12], v[9:10], v[7:8]
	v_add_f64_e64 v[7:8], v[7:8], -v[9:10]
	s_delay_alu instid0(VALU_DEP_4)
	v_add_f64_e64 v[13:14], v[3:4], -v[5:6]
	v_add_f64_e32 v[3:4], v[5:6], v[3:4]
	ds_store_2addr_b64 v1, v[100:101], v[116:117] offset0:10 offset1:59
	ds_store_2addr_b64 v1, v[13:14], v[11:12] offset0:108 offset1:157
	;; [unrolled: 1-line block ×3, first 2 shown]
	s_clause 0x1
	scratch_load_b64 v[3:4], off, off offset:192 th:TH_LOAD_LU
	scratch_load_b64 v[5:6], off, off offset:200 th:TH_LOAD_LU
	s_wait_loadcnt 0x0
	v_add_f64_e32 v[3:4], v[3:4], v[5:6]
	s_clause 0x1
	scratch_load_b64 v[5:6], off, off offset:176 th:TH_LOAD_LU
	scratch_load_b64 v[7:8], off, off offset:184 th:TH_LOAD_LU
	s_wait_loadcnt 0x0
	v_add_f64_e32 v[5:6], v[7:8], v[5:6]
	s_clause 0x1
	scratch_load_b64 v[7:8], off, off offset:56 th:TH_LOAD_LU
	scratch_load_b64 v[9:10], off, off offset:72 th:TH_LOAD_LU
	v_add_f64_e32 v[100:101], v[5:6], v[3:4]
	s_wait_loadcnt 0x0
	v_add_f64_e64 v[7:8], v[7:8], -v[9:10]
	s_clause 0x1
	scratch_load_b64 v[9:10], off, off offset:96 th:TH_LOAD_LU
	scratch_load_b64 v[11:12], off, off offset:104 th:TH_LOAD_LU
	s_wait_loadcnt 0x0
	v_add_f64_e64 v[9:10], v[11:12], -v[9:10]
	s_clause 0x1
	scratch_load_b64 v[11:12], off, off offset:160 th:TH_LOAD_LU
	scratch_load_b64 v[13:14], off, off offset:168 th:TH_LOAD_LU
	s_wait_loadcnt 0x0
	v_add_f64_e32 v[11:12], v[11:12], v[13:14]
	s_clause 0x1
	scratch_load_b64 v[13:14], off, off offset:112 th:TH_LOAD_LU
	scratch_load_b64 v[20:21], off, off offset:120 th:TH_LOAD_LU
	v_add_f64_e32 v[100:101], v[11:12], v[100:101]
	v_add_f64_e64 v[102:103], v[3:4], -v[11:12]
	v_add_f64_e64 v[11:12], v[11:12], -v[5:6]
	v_add_f64_e64 v[3:4], v[5:6], -v[3:4]
	v_add_f64_e64 v[5:6], v[9:10], -v[7:8]
	v_add_f64_e32 v[96:97], v[96:97], v[100:101]
	v_mul_f64_e32 v[102:103], s[16:17], v[102:103]
	s_delay_alu instid0(VALU_DEP_2) | instskip(NEXT) | instid1(VALU_DEP_2)
	v_fma_f64 v[100:101], v[100:101], s[18:19], v[96:97]
	v_fma_f64 v[108:109], v[11:12], s[22:23], v[102:103]
	s_delay_alu instid0(VALU_DEP_1) | instskip(SKIP_2) | instid1(VALU_DEP_1)
	v_add_f64_e32 v[108:109], v[108:109], v[100:101]
	s_wait_loadcnt 0x0
	v_add_f64_e64 v[13:14], v[20:21], -v[13:14]
	v_add_f64_e32 v[104:105], v[13:14], v[9:10]
	v_add_f64_e64 v[106:107], v[13:14], -v[9:10]
	v_add_f64_e64 v[13:14], v[7:8], -v[13:14]
	v_mul_f64_e32 v[9:10], s[6:7], v[5:6]
	s_delay_alu instid0(VALU_DEP_4) | instskip(NEXT) | instid1(VALU_DEP_4)
	v_add_f64_e32 v[104:105], v[104:105], v[7:8]
	v_mul_f64_e32 v[106:107], s[20:21], v[106:107]
	v_mul_f64_e32 v[7:8], s[22:23], v[11:12]
	s_delay_alu instid0(VALU_DEP_4) | instskip(NEXT) | instid1(VALU_DEP_3)
	v_fma_f64 v[9:10], v[13:14], s[2:3], -v[9:10]
	v_fma_f64 v[5:6], v[5:6], s[6:7], -v[106:107]
	s_delay_alu instid0(VALU_DEP_3) | instskip(SKIP_1) | instid1(VALU_DEP_4)
	v_fma_f64 v[7:8], v[3:4], s[14:15], -v[7:8]
	v_fma_f64 v[3:4], v[3:4], s[12:13], -v[102:103]
	v_fma_f64 v[9:10], v[104:105], s[0:1], v[9:10]
	v_fma_f64 v[116:117], v[13:14], s[10:11], v[106:107]
	v_fma_f64 v[5:6], v[104:105], s[0:1], v[5:6]
	v_add_f64_e32 v[7:8], v[7:8], v[100:101]
	v_add_f64_e32 v[3:4], v[3:4], v[100:101]
	s_delay_alu instid0(VALU_DEP_4) | instskip(NEXT) | instid1(VALU_DEP_3)
	v_fma_f64 v[116:117], v[104:105], s[0:1], v[116:117]
	v_add_f64_e32 v[13:14], v[5:6], v[7:8]
	s_delay_alu instid0(VALU_DEP_3)
	v_add_f64_e64 v[11:12], v[3:4], -v[9:10]
	v_add_f64_e64 v[5:6], v[7:8], -v[5:6]
	v_add_f64_e32 v[3:4], v[9:10], v[3:4]
	v_add_f64_e64 v[120:121], v[108:109], -v[116:117]
	v_add_f64_e32 v[7:8], v[116:117], v[108:109]
	v_add_f64_e64 v[9:10], v[204:205], -v[200:201]
	ds_store_2addr_b64 v255, v[11:12], v[13:14] offset0:98 offset1:147
	v_add_f64_e32 v[13:14], v[149:150], v[141:142]
	ds_store_2addr_b64 v255, v[5:6], v[3:4] offset0:196 offset1:245
	v_add_f64_e32 v[3:4], v[174:175], v[134:135]
	v_add_f64_e32 v[5:6], v[145:146], v[147:148]
	ds_store_2addr_b64 v255, v[96:97], v[120:121] offset1:49
	v_add_f64_e64 v[11:12], v[253:254], -v[223:224]
	v_add_f64_e64 v[96:97], v[154:155], -v[238:239]
	v_add_f64_e32 v[100:101], v[5:6], v[3:4]
	v_add_f64_e64 v[102:103], v[5:6], -v[3:4]
	v_add_f64_e64 v[3:4], v[3:4], -v[13:14]
	;; [unrolled: 1-line block ×4, first 2 shown]
	v_add_f64_e32 v[100:101], v[13:14], v[100:101]
	s_delay_alu instid0(VALU_DEP_4) | instskip(NEXT) | instid1(VALU_DEP_2)
	v_mul_f64_e32 v[3:4], s[16:17], v[3:4]
	v_add_f64_e32 v[13:14], v[98:99], v[100:101]
	v_add_f64_e32 v[98:99], v[96:97], v[11:12]
	v_add_f64_e64 v[96:97], v[9:10], -v[96:97]
	v_add_f64_e64 v[11:12], v[11:12], -v[9:10]
	ds_store_2addr_b64 v231, v[7:8], v[13:14] offset0:38 offset1:87
	v_add_f64_e32 v[9:10], v[98:99], v[9:10]
	v_fma_f64 v[7:8], v[100:101], s[18:19], v[13:14]
	v_fma_f64 v[13:14], v[5:6], s[22:23], v[3:4]
	v_mul_f64_e32 v[98:99], s[20:21], v[104:105]
	v_mul_f64_e32 v[5:6], s[22:23], v[5:6]
	v_fma_f64 v[3:4], v[102:103], s[12:13], -v[3:4]
	v_mul_f64_e32 v[100:101], s[6:7], v[11:12]
	v_add_f64_e32 v[13:14], v[13:14], v[7:8]
	v_fma_f64 v[11:12], v[11:12], s[6:7], -v[98:99]
	v_fma_f64 v[5:6], v[102:103], s[14:15], -v[5:6]
	v_add_f64_e32 v[3:4], v[3:4], v[7:8]
	v_fma_f64 v[100:101], v[96:97], s[2:3], -v[100:101]
	v_fma_f64 v[96:97], v[96:97], s[10:11], v[98:99]
	s_delay_alu instid0(VALU_DEP_4) | instskip(SKIP_1) | instid1(VALU_DEP_4)
	v_add_f64_e32 v[5:6], v[5:6], v[7:8]
	v_fma_f64 v[7:8], v[9:10], s[0:1], v[11:12]
	v_fma_f64 v[100:101], v[9:10], s[0:1], v[100:101]
	s_delay_alu instid0(VALU_DEP_4) | instskip(NEXT) | instid1(VALU_DEP_3)
	v_fma_f64 v[96:97], v[9:10], s[0:1], v[96:97]
	v_add_f64_e32 v[9:10], v[7:8], v[5:6]
	v_add_f64_e64 v[5:6], v[5:6], -v[7:8]
	s_delay_alu instid0(VALU_DEP_4)
	v_add_f64_e64 v[104:105], v[3:4], -v[100:101]
	v_add_f64_e32 v[3:4], v[100:101], v[3:4]
	v_add_f64_e64 v[106:107], v[13:14], -v[96:97]
	v_mov_b32_e32 v8, v140
	ds_store_2addr_b64 v140, v[9:10], v[5:6] offset0:106 offset1:155
	v_add_f64_e32 v[5:6], v[96:97], v[13:14]
	ds_store_2addr_b64 v231, v[106:107], v[104:105] offset0:136 offset1:185
	ds_store_2addr_b64 v190, v[3:4], v[5:6] offset0:76 offset1:125
	v_add_f64_e32 v[3:4], v[221:222], v[219:220]
	v_add_f64_e32 v[5:6], v[172:173], v[164:165]
	ds_store_b64 v115, v[3:4] offset:7840
	ds_store_b64 v139, v[5:6] offset:10584
	v_add_f64_e32 v[3:4], v[126:127], v[124:125]
	v_add_f64_e32 v[5:6], v[128:129], v[118:119]
	ds_store_b64 v176, v[3:4] offset:13328
	ds_store_b64 v2, v[5:6] offset:16072
	v_add_f64_e32 v[1:2], v[113:114], v[110:111]
	ds_store_b64 v0, v[1:2] offset:18816
	global_wb scope:SCOPE_SE
	s_wait_dscnt 0x0
	s_barrier_signal -1
	s_barrier_wait -1
	global_inv scope:SCOPE_SE
	s_and_saveexec_b32 s24, vcc_lo
	s_cbranch_execz .LBB0_13
; %bb.12:
	scratch_load_b32 v145, off, off offset:32 ; 4-byte Folded Reload
	v_add_co_u32 v96, s24, s4, v112
	s_wait_alu 0xf1fe
	v_add_co_ci_u32_e64 v97, null, s5, 0, s24
	v_dual_mov_b32 v177, v8 :: v_dual_add_nc_u32 v232, 0x2800, v255
	v_add_nc_u32_e32 v202, 0x4000, v255
	global_load_b128 v[0:3], v[96:97], off offset:5408
	v_add_nc_u32_e32 v235, 0x2000, v255
	v_add_nc_u32_e32 v223, 0x3000, v255
	s_wait_loadcnt 0x1
	v_mul_u32_u24_e32 v98, 6, v145
	v_mov_b32_e32 v9, v145
	s_delay_alu instid0(VALU_DEP_2) | instskip(NEXT) | instid1(VALU_DEP_2)
	v_dual_mov_b32 v99, 0 :: v_dual_lshlrev_b32 v132, 4, v98
	v_mad_u32_u24 v98, v9, 6, 0xfffffeda
	v_mov_b32_e32 v10, v9
	global_load_b128 v[12:15], v132, s[4:5] offset:5392
	v_lshlrev_b64_e32 v[4:5], 4, v[98:99]
	s_clause 0x2
	global_load_b128 v[100:103], v[96:97], off offset:5440
	global_load_b128 v[108:111], v132, s[4:5] offset:5424
	global_load_b128 v[112:115], v132, s[4:5] offset:5376
	v_mad_u32_u24 v98, v9, 6, 0xfffffdb4
	v_mov_b32_e32 v20, v10
	v_add_co_u32 v4, vcc_lo, s4, v4
	s_delay_alu instid0(VALU_DEP_3)
	v_lshlrev_b64_e32 v[6:7], 4, v[98:99]
	v_mad_u32_u24 v98, v9, 6, 0xfffffc8e
	s_wait_alu 0xfffd
	v_add_co_ci_u32_e32 v5, vcc_lo, s5, v5, vcc_lo
	s_clause 0x5
	global_load_b128 v[116:119], v[4:5], off offset:5376
	global_load_b128 v[120:123], v132, s[4:5] offset:5440
	global_load_b128 v[124:127], v[4:5], off offset:5440
	global_load_b128 v[128:131], v132, s[4:5] offset:5408
	global_load_b128 v[133:136], v[4:5], off offset:5408
	global_load_b128 v[137:140], v[4:5], off offset:5456
	v_add_co_u32 v6, vcc_lo, s4, v6
	s_wait_alu 0xfffd
	v_add_co_ci_u32_e32 v7, vcc_lo, s5, v7, vcc_lo
	s_clause 0x4
	global_load_b128 v[141:144], v[6:7], off offset:5456
	global_load_b128 v[145:148], v[4:5], off offset:5392
	;; [unrolled: 1-line block ×5, first 2 shown]
	v_lshlrev_b64_e32 v[4:5], 4, v[98:99]
	v_mad_u32_u24 v98, v20, 6, 0xfffffb68
	s_delay_alu instid0(VALU_DEP_2) | instskip(SKIP_1) | instid1(VALU_DEP_3)
	v_add_co_u32 v4, vcc_lo, s4, v4
	s_wait_alu 0xfffd
	v_add_co_ci_u32_e32 v5, vcc_lo, s5, v5, vcc_lo
	s_clause 0x5
	global_load_b128 v[161:164], v[6:7], off offset:5376
	global_load_b128 v[165:168], v[4:5], off offset:5376
	;; [unrolled: 1-line block ×6, first 2 shown]
	v_add_nc_u32_e32 v6, 0x1c00, v255
	ds_load_2addr_b64 v[194:197], v223 offset0:130 offset1:179
	v_lshlrev_b64_e32 v[10:11], 4, v[98:99]
	v_add_nc_u32_e32 v98, 0x3800, v255
	global_load_b128 v[190:193], v[96:97], off offset:5424
	ds_load_2addr_b64 v[186:189], v6 offset0:84 offset1:133
	v_add_co_u32 v10, vcc_lo, s4, v10
	s_wait_alu 0xfffd
	v_add_co_ci_u32_e32 v11, vcc_lo, s5, v11, vcc_lo
	s_wait_loadcnt_dscnt 0x1600
	v_mul_f64_e32 v[6:7], v[2:3], v[188:189]
	v_mul_f64_e32 v[8:9], v[0:1], v[188:189]
	s_delay_alu instid0(VALU_DEP_2) | instskip(NEXT) | instid1(VALU_DEP_2)
	v_fma_f64 v[6:7], v[90:91], v[0:1], -v[6:7]
	v_fma_f64 v[8:9], v[90:91], v[2:3], v[8:9]
	s_wait_loadcnt 0x15
	v_mul_f64_e32 v[104:105], v[14:15], v[186:187]
	v_mul_f64_e32 v[106:107], v[12:13], v[186:187]
	ds_load_2addr_b64 v[186:189], v42 offset0:76 offset1:125
	s_wait_loadcnt 0x13
	v_mul_f64_e32 v[213:214], v[110:111], v[194:195]
	s_clause 0x2
	global_load_b128 v[198:201], v[4:5], off offset:5456
	global_load_b128 v[203:206], v[10:11], off offset:5456
	;; [unrolled: 1-line block ×3, first 2 shown]
	v_mul_f64_e32 v[211:212], v[102:103], v[196:197]
	v_mul_f64_e32 v[196:197], v[100:101], v[196:197]
	;; [unrolled: 1-line block ×3, first 2 shown]
	ds_load_2addr_b64 v[0:3], v98 offset0:168 offset1:217
	s_wait_loadcnt_dscnt 0x1501
	v_mul_f64_e32 v[215:216], v[114:115], v[188:189]
	v_mul_f64_e32 v[90:91], v[112:113], v[188:189]
	s_wait_loadcnt 0x14
	v_mul_f64_e32 v[188:189], v[118:119], v[186:187]
	v_mul_f64_e32 v[186:187], v[116:117], v[186:187]
	s_wait_loadcnt_dscnt 0x1300
	v_mul_f64_e32 v[84:85], v[122:123], v[2:3]
	v_mul_f64_e32 v[2:3], v[120:121], v[2:3]
	v_fma_f64 v[104:105], v[88:89], v[12:13], -v[104:105]
	v_fma_f64 v[106:107], v[88:89], v[14:15], v[106:107]
	global_load_b128 v[12:15], v[4:5], off offset:5392
	v_fma_f64 v[213:214], v[49:50], v[108:109], -v[213:214]
	v_add_nc_u32_e32 v108, 0x2400, v255
	v_fma_f64 v[211:212], v[51:52], v[100:101], -v[211:212]
	v_fma_f64 v[196:197], v[51:52], v[102:103], v[196:197]
	s_clause 0x1
	global_load_b128 v[100:103], v132, s[4:5] offset:5456
	global_load_b128 v[86:89], v[10:11], off offset:5392
	v_fma_f64 v[194:195], v[49:50], v[110:111], v[194:195]
	ds_load_2addr_b64 v[108:111], v108 offset0:122 offset1:171
	v_fma_f64 v[215:216], v[94:95], v[112:113], -v[215:216]
	v_fma_f64 v[217:218], v[94:95], v[114:115], v[90:91]
	global_load_b128 v[112:115], v[4:5], off offset:5424
	v_fma_f64 v[4:5], v[92:93], v[116:117], -v[188:189]
	s_wait_loadcnt 0x16
	v_mul_f64_e32 v[94:95], v[126:127], v[0:1]
	v_mul_f64_e32 v[116:117], v[124:125], v[0:1]
	v_fma_f64 v[219:220], v[82:83], v[120:121], -v[84:85]
	v_fma_f64 v[221:222], v[82:83], v[122:123], v[2:3]
	s_wait_loadcnt_dscnt 0x1400
	v_mul_f64_e32 v[188:189], v[135:136], v[108:109]
	v_mul_f64_e32 v[108:109], v[133:134], v[108:109]
	ds_load_2addr_b64 v[0:3], v202 offset0:206 offset1:255
	v_fma_f64 v[186:187], v[92:93], v[118:119], v[186:187]
	v_mul_f64_e32 v[118:119], v[130:131], v[110:111]
	v_mul_f64_e32 v[110:111], v[128:129], v[110:111]
	global_load_b128 v[90:93], v[10:11], off offset:5424
	s_wait_loadcnt_dscnt 0x1400
	v_mul_f64_e32 v[84:85], v[139:140], v[2:3]
	s_wait_loadcnt 0x13
	v_mul_f64_e32 v[120:121], v[143:144], v[0:1]
	v_mul_f64_e32 v[122:123], v[141:142], v[0:1]
	v_fma_f64 v[124:125], v[80:81], v[124:125], -v[94:95]
	v_fma_f64 v[126:127], v[80:81], v[126:127], v[116:117]
	ds_load_2addr_b64 v[80:83], v43 offset0:114 offset1:163
	v_mul_f64_e32 v[116:117], v[137:138], v[2:3]
	s_clause 0x1
	global_load_b128 v[0:3], v[96:97], off offset:5376
	global_load_b128 v[94:97], v[96:97], off offset:5392
	v_fma_f64 v[132:133], v[34:35], v[133:134], -v[188:189]
	v_fma_f64 v[134:135], v[34:35], v[135:136], v[108:109]
	ds_load_2addr_b64 v[76:79], v223 offset0:32 offset1:81
	v_fma_f64 v[128:129], v[36:37], v[128:129], -v[118:119]
	v_fma_f64 v[130:131], v[36:37], v[130:131], v[110:111]
	ds_load_2addr_b64 v[72:75], v177 offset0:106 offset1:155
	global_load_b128 v[68:71], v[10:11], off offset:5440
	s_wait_loadcnt_dscnt 0x1502
	v_mul_f64_e32 v[108:109], v[147:148], v[82:83]
	v_mul_f64_e32 v[82:83], v[145:146], v[82:83]
	s_wait_loadcnt 0x14
	v_mul_f64_e32 v[110:111], v[151:152], v[80:81]
	v_mul_f64_e32 v[118:119], v[149:150], v[80:81]
	v_fma_f64 v[136:137], v[24:25], v[137:138], -v[84:85]
	s_wait_loadcnt_dscnt 0x1301
	v_mul_f64_e32 v[188:189], v[153:154], v[78:79]
	v_fma_f64 v[138:139], v[24:25], v[139:140], v[116:117]
	v_mul_f64_e32 v[116:117], v[155:156], v[78:79]
	v_fma_f64 v[140:141], v[22:23], v[141:142], -v[120:121]
	v_fma_f64 v[142:143], v[22:23], v[143:144], v[122:123]
	s_wait_loadcnt_dscnt 0x1100
	v_mul_f64_e32 v[120:121], v[163:164], v[74:75]
	s_wait_loadcnt 0x10
	v_mul_f64_e32 v[122:123], v[165:166], v[72:73]
	global_load_b128 v[78:81], v[10:11], off offset:5376
	v_fma_f64 v[144:145], v[28:29], v[145:146], -v[108:109]
	v_fma_f64 v[146:147], v[28:29], v[147:148], v[82:83]
	ds_load_2addr_b64 v[82:85], v98 offset0:70 offset1:119
	v_mul_f64_e32 v[108:109], v[159:160], v[76:77]
	v_mul_f64_e32 v[76:77], v[157:158], v[76:77]
	v_fma_f64 v[148:149], v[26:27], v[149:150], -v[110:111]
	v_fma_f64 v[150:151], v[26:27], v[151:152], v[118:119]
	v_mul_f64_e32 v[110:111], v[161:162], v[74:75]
	v_mul_f64_e32 v[118:119], v[167:168], v[72:73]
	global_load_b128 v[72:75], v[10:11], off offset:5408
	v_mad_u32_u24 v98, v20, 6, 0xfffffa42
	v_fma_f64 v[152:153], v[66:67], v[153:154], -v[116:117]
	v_fma_f64 v[154:155], v[66:67], v[155:156], v[188:189]
	s_wait_loadcnt_dscnt 0x1100
	v_mul_f64_e32 v[223:224], v[171:172], v[84:85]
	v_mul_f64_e32 v[116:117], v[169:170], v[84:85]
	s_wait_loadcnt 0x10
	v_mul_f64_e32 v[188:189], v[175:176], v[82:83]
	v_mul_f64_e32 v[225:226], v[173:174], v[82:83]
	v_lshlrev_b64_e32 v[82:83], 4, v[98:99]
	s_delay_alu instid0(VALU_DEP_1) | instskip(SKIP_1) | instid1(VALU_DEP_2)
	v_add_co_u32 v10, vcc_lo, s4, v82
	s_wait_alu 0xfffd
	v_add_co_ci_u32_e32 v11, vcc_lo, s5, v83, vcc_lo
	v_fma_f64 v[156:157], v[64:65], v[157:158], -v[108:109]
	v_fma_f64 v[76:77], v[64:65], v[159:160], v[76:77]
	ds_load_2addr_b64 v[64:67], v235 offset0:152 offset1:201
	v_fma_f64 v[158:159], v[62:63], v[161:162], -v[120:121]
	v_fma_f64 v[160:161], v[62:63], v[163:164], v[110:111]
	v_fma_f64 v[162:163], v[60:61], v[165:166], -v[118:119]
	v_fma_f64 v[164:165], v[60:61], v[167:168], v[122:123]
	s_clause 0x2
	global_load_b128 v[60:63], v[10:11], off offset:5392
	global_load_b128 v[82:85], v[10:11], off offset:5376
	;; [unrolled: 1-line block ×3, first 2 shown]
	ds_load_2addr_b64 v[52:55], v43 offset0:16 offset1:65
	v_fma_f64 v[166:167], v[58:59], v[169:170], -v[223:224]
	v_fma_f64 v[168:169], v[58:59], v[171:172], v[116:117]
	global_load_b128 v[116:119], v[10:11], off offset:5440
	s_wait_loadcnt_dscnt 0x1301
	v_mul_f64_e32 v[120:121], v[180:181], v[66:67]
	v_fma_f64 v[170:171], v[56:57], v[173:174], -v[188:189]
	v_fma_f64 v[172:173], v[56:57], v[175:176], v[225:226]
	v_mul_f64_e32 v[122:123], v[178:179], v[66:67]
	s_wait_loadcnt 0x12
	v_mul_f64_e32 v[174:175], v[184:185], v[64:65]
	v_mul_f64_e32 v[176:177], v[182:183], v[64:65]
	s_clause 0x1
	global_load_b128 v[56:59], v[10:11], off offset:5408
	global_load_b128 v[64:67], v[10:11], off offset:5424
	v_fma_f64 v[178:179], v[18:19], v[178:179], -v[120:121]
	v_fma_f64 v[180:181], v[18:19], v[180:181], v[122:123]
	v_fma_f64 v[174:175], v[16:17], v[182:183], -v[174:175]
	v_fma_f64 v[176:177], v[16:17], v[184:185], v[176:177]
	scratch_load_b128 v[16:19], off, off offset:352 th:TH_LOAD_LU ; 16-byte Folded Reload
	ds_load_2addr_b64 v[120:123], v202 offset0:108 offset1:157
	s_wait_loadcnt_dscnt 0x1300
	v_mul_f64_e32 v[10:11], v[200:201], v[122:123]
	v_mul_f64_e32 v[122:123], v[198:199], v[122:123]
	s_wait_loadcnt 0x12
	v_mul_f64_e32 v[182:183], v[205:206], v[120:121]
	v_mul_f64_e32 v[184:185], v[203:204], v[120:121]
	s_delay_alu instid0(VALU_DEP_4)
	v_fma_f64 v[188:189], v[40:41], v[198:199], -v[10:11]
	s_wait_loadcnt 0x10
	v_mul_f64_e32 v[10:11], v[14:15], v[54:55]
	v_mul_f64_e32 v[48:49], v[12:13], v[54:55]
	v_fma_f64 v[198:199], v[40:41], v[200:201], v[122:123]
	ds_load_2addr_b64 v[120:123], v232 offset0:190 offset1:239
	v_fma_f64 v[182:183], v[38:39], v[203:204], -v[182:183]
	s_wait_loadcnt 0xe
	v_mul_f64_e32 v[50:51], v[88:89], v[52:53]
	v_mul_f64_e32 v[52:53], v[86:87], v[52:53]
	v_fma_f64 v[184:185], v[38:39], v[205:206], v[184:185]
	ds_load_b64 v[203:204], v255 offset:18816
	s_wait_loadcnt_dscnt 0xd01
	v_mul_f64_e32 v[54:55], v[114:115], v[122:123]
	v_mul_f64_e32 v[122:123], v[112:113], v[122:123]
	s_wait_loadcnt 0xc
	v_mul_f64_e32 v[200:201], v[92:93], v[120:121]
	v_mul_f64_e32 v[120:121], v[90:91], v[120:121]
	s_wait_loadcnt 0x0
	v_fma_f64 v[205:206], v[18:19], v[12:13], -v[10:11]
	v_fma_f64 v[223:224], v[18:19], v[14:15], v[48:49]
	ds_load_2addr_b64 v[12:15], v202 offset0:10 offset1:59
	v_fma_f64 v[86:87], v[16:17], v[86:87], -v[50:51]
	v_fma_f64 v[52:53], v[16:17], v[88:89], v[52:53]
	ds_load_2addr_b64 v[44:47], v231 offset0:38 offset1:87
	ds_load_2addr_b64 v[48:51], v42 offset0:174 offset1:223
	s_clause 0x3
	scratch_load_b128 v[16:19], off, off offset:336 th:TH_LOAD_LU
	scratch_load_b128 v[22:25], off, off offset:288 th:TH_LOAD_LU
	;; [unrolled: 1-line block ×4, first 2 shown]
	s_wait_dscnt 0x3
	v_mul_f64_e32 v[10:11], v[102:103], v[203:204]
	v_mul_f64_e32 v[88:89], v[100:101], v[203:204]
	ds_load_2addr_b64 v[40:43], v232 offset0:92 offset1:141
	scratch_load_b128 v[227:230], off, off offset:224 th:TH_LOAD_LU ; 16-byte Folded Reload
	s_wait_loadcnt 0x4
	v_fma_f64 v[54:55], v[18:19], v[112:113], -v[54:55]
	v_fma_f64 v[112:113], v[18:19], v[114:115], v[122:123]
	v_fma_f64 v[92:93], v[16:17], v[92:93], v[120:121]
	s_wait_dscnt 0x2
	v_mul_f64_e32 v[120:121], v[2:3], v[46:47]
	v_mul_f64_e32 v[122:123], v[0:1], v[46:47]
	scratch_load_b64 v[46:47], off, off offset:144 th:TH_LOAD_LU ; 8-byte Folded Reload
	v_mul_f64_e32 v[114:115], v[209:210], v[12:13]
	v_mul_f64_e32 v[12:13], v[207:208], v[12:13]
	v_fma_f64 v[90:91], v[16:17], v[90:91], -v[200:201]
	scratch_load_b128 v[16:19], off, off offset:272 th:TH_LOAD_LU ; 16-byte Folded Reload
	s_wait_loadcnt 0x2
	v_fma_f64 v[120:121], v[229:230], v[0:1], -v[120:121]
	v_add_nc_u32_e32 v0, 0x3400, v255
	v_fma_f64 v[122:123], v[229:230], v[2:3], v[122:123]
	v_fma_f64 v[114:115], v[22:23], v[207:208], -v[114:115]
	v_fma_f64 v[32:33], v[22:23], v[209:210], v[12:13]
	scratch_load_b128 v[20:23], off, off offset:240 th:TH_LOAD_LU ; 16-byte Folded Reload
	s_wait_dscnt 0x0
	v_mul_f64_e32 v[12:13], v[192:193], v[40:41]
	v_mul_f64_e32 v[40:41], v[190:191], v[40:41]
	ds_load_2addr_b64 v[0:3], v0 offset0:100 offset1:149
	s_wait_loadcnt 0x2
	v_fma_f64 v[100:101], v[46:47], v[100:101], -v[10:11]
	v_fma_f64 v[88:89], v[46:47], v[102:103], v[88:89]
	v_mul_f64_e32 v[10:11], v[96:97], v[48:49]
	v_mul_f64_e32 v[102:103], v[94:95], v[48:49]
	ds_load_2addr_b64 v[46:49], v231 offset0:136 offset1:185
	s_wait_dscnt 0x0
	v_mul_f64_e32 v[200:201], v[80:81], v[48:49]
	v_mul_f64_e32 v[48:49], v[78:79], v[48:49]
	s_wait_loadcnt 0x1
	v_fma_f64 v[94:95], v[16:17], v[94:95], -v[10:11]
	v_fma_f64 v[16:17], v[16:17], v[96:97], v[102:103]
	v_mul_f64_e32 v[102:103], v[62:63], v[50:51]
	v_mul_f64_e32 v[50:51], v[60:61], v[50:51]
	v_fma_f64 v[78:79], v[30:31], v[78:79], -v[200:201]
	scratch_load_b128 v[200:203], off, off offset:256 th:TH_LOAD_LU ; 16-byte Folded Reload
	s_wait_loadcnt 0x1
	v_fma_f64 v[96:97], v[20:21], v[190:191], -v[12:13]
	v_fma_f64 v[20:21], v[20:21], v[192:193], v[40:41]
	v_mul_f64_e32 v[40:41], v[70:71], v[2:3]
	v_mul_f64_e32 v[2:3], v[68:69], v[2:3]
	ds_load_2addr_b64 v[10:13], v235 offset0:54 offset1:103
	v_fma_f64 v[30:31], v[30:31], v[80:81], v[48:49]
	v_mul_f64_e32 v[80:81], v[116:117], v[0:1]
	v_mul_f64_e32 v[192:193], v[66:67], v[42:43]
	;; [unrolled: 1-line block ×3, first 2 shown]
	v_fma_f64 v[60:61], v[18:19], v[60:61], -v[102:103]
	v_fma_f64 v[18:19], v[18:19], v[62:63], v[50:51]
	v_add_f64_e32 v[102:103], v[94:95], v[211:212]
	v_add_f64_e64 v[62:63], v[194:195], -v[130:131]
	v_add_f64_e32 v[50:51], v[213:214], v[128:129]
	s_wait_dscnt 0x0
	v_mul_f64_e32 v[48:49], v[74:75], v[12:13]
	v_mul_f64_e32 v[190:191], v[58:59], v[10:11]
	v_mul_f64_e32 v[10:11], v[56:57], v[10:11]
	v_fma_f64 v[40:41], v[36:37], v[68:69], -v[40:41]
	v_fma_f64 v[38:39], v[36:37], v[70:71], v[2:3]
	v_mul_f64_e32 v[2:3], v[72:73], v[12:13]
	v_mul_f64_e32 v[12:13], v[110:111], v[14:15]
	;; [unrolled: 1-line block ×6, first 2 shown]
	v_fma_f64 v[64:65], v[22:23], v[64:65], -v[192:193]
	v_fma_f64 v[22:23], v[22:23], v[66:67], v[42:43]
	v_add_f64_e32 v[36:37], v[194:195], v[130:131]
	v_add_f64_e64 v[66:67], v[106:107], -v[221:222]
	v_add_f64_e32 v[130:131], v[158:159], v[140:141]
	v_add_f64_e32 v[42:43], v[215:216], v[100:101]
	v_add_f64_e64 v[194:195], v[52:53], -v[38:39]
	v_fma_f64 v[12:13], v[24:25], v[108:109], -v[12:13]
	v_fma_f64 v[14:15], v[24:25], v[110:111], v[14:15]
	v_add_f64_e64 v[24:25], v[120:121], -v[114:115]
	v_fma_f64 v[68:69], v[28:29], v[82:83], -v[68:69]
	v_fma_f64 v[70:71], v[34:35], v[116:117], -v[70:71]
	v_fma_f64 v[28:29], v[28:29], v[84:85], v[46:47]
	v_fma_f64 v[34:35], v[34:35], v[118:119], v[80:81]
	v_add_f64_e64 v[108:109], v[96:97], -v[6:7]
	v_add_f64_e64 v[110:111], v[94:95], -v[211:212]
	v_add_f64_e32 v[116:117], v[122:123], v[32:33]
	v_add_f64_e32 v[118:119], v[16:17], v[196:197]
	;; [unrolled: 1-line block ×4, first 2 shown]
	v_add_f64_e64 v[96:97], v[122:123], -v[32:33]
	v_add_f64_e64 v[120:121], v[20:21], -v[8:9]
	;; [unrolled: 1-line block ×4, first 2 shown]
	v_add_f64_e32 v[32:33], v[106:107], v[221:222]
	v_add_f64_e32 v[46:47], v[104:105], v[219:220]
	;; [unrolled: 1-line block ×5, first 2 shown]
	v_add_f64_e64 v[106:107], v[186:187], -v[138:139]
	v_add_f64_e64 v[126:127], v[146:147], -v[126:127]
	;; [unrolled: 1-line block ×3, first 2 shown]
	v_add_f64_e32 v[146:147], v[156:157], v[178:179]
	v_add_f64_e32 v[156:157], v[164:165], v[198:199]
	v_add_f64_e64 v[164:165], v[164:165], -v[198:199]
	v_add_f64_e32 v[178:179], v[52:53], v[38:39]
	v_add_f64_e64 v[80:81], v[144:145], -v[124:125]
	;; [unrolled: 2-line block ×3, first 2 shown]
	scratch_store_b64 off, v[24:25], off offset:72 ; 8-byte Folded Spill
	v_add_f64_e64 v[24:25], v[215:216], -v[100:101]
	v_add_f64_e64 v[38:39], v[60:61], -v[70:71]
	v_add_f64_e32 v[52:53], v[28:29], v[14:15]
	v_add_f64_e32 v[196:197], v[18:19], v[34:35]
	v_add_f64_e32 v[100:101], v[144:145], v[124:125]
	v_add_f64_e32 v[124:125], v[160:161], v[142:143]
	v_add_f64_e32 v[144:145], v[76:77], v[180:181]
	v_add_f64_e64 v[142:143], v[160:161], -v[142:143]
	v_add_f64_e32 v[160:161], v[112:113], v[176:177]
	v_add_f64_e64 v[112:113], v[112:113], -v[176:177]
	v_add_f64_e32 v[176:177], v[30:31], v[184:185]
	v_add_f64_e64 v[184:185], v[30:31], -v[184:185]
	v_add_f64_e64 v[76:77], v[76:77], -v[180:181]
	;; [unrolled: 1-line block ×5, first 2 shown]
	s_delay_alu instid0(VALU_DEP_4)
	v_add_f64_e64 v[225:226], v[142:143], -v[76:77]
	s_wait_loadcnt 0x0
	v_fma_f64 v[56:57], v[200:201], v[56:57], -v[190:191]
	v_fma_f64 v[10:11], v[200:201], v[58:59], v[10:11]
	v_add_f64_e32 v[190:191], v[20:21], v[8:9]
	v_add_f64_e64 v[8:9], v[213:214], -v[128:129]
	v_fma_f64 v[48:49], v[202:203], v[72:73], -v[48:49]
	v_fma_f64 v[26:27], v[202:203], v[74:75], v[2:3]
	v_add_f64_e32 v[20:21], v[217:218], v[88:89]
	v_add_f64_e64 v[58:59], v[217:218], -v[88:89]
	v_add_f64_e64 v[72:73], v[4:5], -v[136:137]
	;; [unrolled: 1-line block ×3, first 2 shown]
	v_add_f64_e32 v[88:89], v[154:155], v[134:135]
	v_add_f64_e32 v[4:5], v[4:5], v[136:137]
	;; [unrolled: 1-line block ×3, first 2 shown]
	v_add_f64_e64 v[134:135], v[154:155], -v[134:135]
	v_add_f64_e64 v[136:137], v[158:159], -v[140:141]
	;; [unrolled: 1-line block ×4, first 2 shown]
	v_add_f64_e32 v[166:167], v[205:206], v[170:171]
	v_add_f64_e32 v[200:201], v[60:61], v[70:71]
	v_add_f64_e64 v[203:204], v[28:29], -v[14:15]
	v_add_f64_e32 v[128:129], v[150:151], v[168:169]
	v_add_f64_e64 v[148:149], v[150:151], -v[168:169]
	v_add_f64_e64 v[150:151], v[162:163], -v[188:189]
	v_add_f64_e64 v[152:153], v[54:55], -v[174:175]
	v_add_f64_e32 v[158:159], v[223:224], v[172:173]
	v_add_f64_e32 v[162:163], v[162:163], v[188:189]
	;; [unrolled: 1-line block ×3, first 2 shown]
	v_add_f64_e64 v[168:169], v[223:224], -v[172:173]
	v_add_f64_e64 v[170:171], v[78:79], -v[182:183]
	;; [unrolled: 1-line block ×3, first 2 shown]
	v_add_f64_e32 v[182:183], v[78:79], v[182:183]
	v_add_f64_e32 v[40:41], v[42:43], v[46:47]
	v_add_f64_e64 v[70:71], v[42:43], -v[50:51]
	v_add_f64_e64 v[213:214], v[16:17], -v[24:25]
	;; [unrolled: 1-line block ×3, first 2 shown]
	ds_load_2addr_b64 v[0:3], v255 offset0:196 offset1:245
	v_add_f64_e64 v[223:224], v[130:131], -v[146:147]
	v_add_f64_e32 v[198:199], v[22:23], v[10:11]
	v_add_f64_e64 v[205:206], v[22:23], -v[10:11]
	v_add_f64_e64 v[22:23], v[18:19], -v[34:35]
	;; [unrolled: 1-line block ×4, first 2 shown]
	v_add_f64_e32 v[60:61], v[8:9], v[16:17]
	scratch_load_b128 v[6:9], off, off offset:128 th:TH_LOAD_LU ; 16-byte Folded Reload
	v_add_f64_e64 v[172:173], v[90:91], -v[48:49]
	v_add_f64_e32 v[90:91], v[90:91], v[48:49]
	v_add_f64_e32 v[30:31], v[20:21], v[32:33]
	v_add_f64_e32 v[48:49], v[82:83], v[84:85]
	v_add_f64_e32 v[78:79], v[4:5], v[100:101]
	v_add_f64_e32 v[188:189], v[130:131], v[132:133]
	v_add_f64_e32 v[180:181], v[92:93], v[26:27]
	v_add_f64_e64 v[192:193], v[92:93], -v[26:27]
	v_add_f64_e64 v[92:93], v[68:69], -v[12:13]
	;; [unrolled: 1-line block ×3, first 2 shown]
	v_add_f64_e32 v[12:13], v[68:69], v[12:13]
	v_add_f64_e32 v[56:57], v[64:65], v[56:57]
	;; [unrolled: 1-line block ×3, first 2 shown]
	v_add_f64_e64 v[64:65], v[20:21], -v[36:37]
	v_add_f64_e64 v[68:69], v[36:37], -v[32:33]
	;; [unrolled: 1-line block ×3, first 2 shown]
	v_add_f64_e32 v[62:63], v[62:63], v[66:67]
	v_add_f64_e64 v[46:47], v[66:67], -v[58:59]
	v_add_f64_e64 v[66:67], v[72:73], -v[74:75]
	;; [unrolled: 1-line block ×3, first 2 shown]
	v_add_f64_e32 v[74:75], v[74:75], v[80:81]
	v_add_f64_e64 v[217:218], v[82:83], -v[88:89]
	v_add_f64_e64 v[219:220], v[134:135], -v[126:127]
	;; [unrolled: 1-line block ×5, first 2 shown]
	v_add_f64_e32 v[76:77], v[76:77], v[148:149]
	v_add_f64_e64 v[124:125], v[128:129], -v[124:125]
	v_add_f64_e32 v[231:232], v[156:157], v[158:159]
	v_add_f64_e64 v[235:236], v[160:161], -v[158:159]
	;; [unrolled: 2-line block ×3, first 2 shown]
	v_add_f64_e64 v[158:159], v[166:167], -v[162:163]
	v_add_f64_e64 v[32:33], v[32:33], -v[20:21]
	v_add_f64_e32 v[239:240], v[112:113], v[168:169]
	v_mul_f64_e32 v[34:35], s[20:21], v[34:35]
	v_add_f64_e32 v[24:25], v[24:25], v[60:61]
	v_add_f64_e64 v[60:61], v[164:165], -v[112:113]
	v_add_f64_e64 v[112:113], v[112:113], -v[168:169]
	v_add_f64_e32 v[30:31], v[36:37], v[30:31]
	v_add_f64_e32 v[36:37], v[50:51], v[40:41]
	v_add_f64_e32 v[40:41], v[88:89], v[48:49]
	v_add_f64_e32 v[48:49], v[104:105], v[78:79]
	v_add_f64_e64 v[78:79], v[88:89], -v[84:85]
	v_add_f64_e64 v[88:89], v[4:5], -v[104:105]
	;; [unrolled: 1-line block ×6, first 2 shown]
	v_add_f64_e32 v[50:51], v[144:145], v[86:87]
	v_add_f64_e32 v[86:87], v[146:147], v[188:189]
	v_add_f64_e64 v[188:189], v[106:107], -v[134:135]
	v_add_f64_e32 v[134:135], v[134:135], v[126:127]
	v_add_f64_e64 v[126:127], v[138:139], -v[140:141]
	;; [unrolled: 2-line block ×3, first 2 shown]
	v_add_f64_e64 v[146:147], v[146:147], -v[132:133]
	v_add_f64_e64 v[140:141], v[140:141], -v[136:137]
	;; [unrolled: 1-line block ×6, first 2 shown]
	v_add_f64_e32 v[152:153], v[152:153], v[154:155]
	v_add_f64_e32 v[72:73], v[72:73], v[74:75]
	v_mul_f64_e32 v[74:75], s[6:7], v[213:214]
	v_mul_f64_e32 v[68:69], s[22:23], v[68:69]
	v_add_f64_e32 v[58:59], v[58:59], v[62:63]
	v_mul_f64_e32 v[62:63], s[16:17], v[64:65]
	v_add_f64_e64 v[154:155], v[154:155], -v[150:151]
	v_add_f64_e32 v[76:77], v[142:143], v[76:77]
	v_mul_f64_e32 v[142:143], s[6:7], v[46:47]
	v_add_f64_e32 v[160:161], v[160:161], v[231:232]
	v_mul_f64_e32 v[215:216], s[20:21], v[215:216]
	v_mul_f64_e32 v[219:220], s[20:21], v[219:220]
	;; [unrolled: 1-line block ×5, first 2 shown]
	v_add_f64_e32 v[245:246], v[44:45], v[30:31]
	v_add_f64_e64 v[44:45], v[162:163], -v[54:55]
	s_wait_dscnt 0x0
	v_add_f64_e32 v[16:17], v[2:3], v[40:41]
	v_add_f64_e32 v[2:3], v[172:173], v[174:175]
	;; [unrolled: 1-line block ×4, first 2 shown]
	v_mul_f64_e32 v[78:79], s[22:23], v[78:79]
	v_add_f64_e64 v[227:228], v[196:197], -v[52:53]
	v_mul_f64_e32 v[231:232], s[16:17], v[88:89]
	v_mul_f64_e32 v[104:105], s[22:23], v[104:105]
	v_add_f64_e32 v[20:21], v[0:1], v[50:51]
	v_add_f64_e64 v[0:1], v[54:55], -v[166:167]
	v_add_f64_e64 v[166:167], v[168:169], -v[164:165]
	v_add_f64_e32 v[106:107], v[106:107], v[134:135]
	v_mul_f64_e32 v[134:135], s[16:17], v[70:71]
	v_mul_f64_e32 v[168:169], s[22:23], v[207:208]
	v_add_f64_e32 v[136:137], v[136:137], v[138:139]
	v_add_f64_e64 v[138:139], v[170:171], -v[172:173]
	v_add_f64_e64 v[172:173], v[172:173], -v[174:175]
	;; [unrolled: 1-line block ×3, first 2 shown]
	v_mul_f64_e32 v[207:208], s[20:21], v[211:212]
	v_add_f64_e64 v[211:212], v[52:53], -v[198:199]
	v_add_f64_e64 v[52:53], v[198:199], -v[196:197]
	v_add_f64_e32 v[150:151], v[150:151], v[152:153]
	v_mul_f64_e32 v[152:153], s[16:17], v[217:218]
	v_mul_f64_e32 v[196:197], s[6:7], v[80:81]
	;; [unrolled: 1-line block ×4, first 2 shown]
	v_fma_f64 v[74:75], v[28:29], s[2:3], -v[74:75]
	v_fma_f64 v[28:29], v[28:29], s[10:11], v[34:35]
	v_fma_f64 v[34:35], v[213:214], s[6:7], -v[34:35]
	v_mul_f64_e32 v[213:214], s[6:7], v[140:141]
	v_add_f64_e32 v[54:55], v[54:55], v[237:238]
	v_add_f64_e32 v[164:165], v[164:165], v[239:240]
	v_fma_f64 v[64:65], v[64:65], s[16:17], v[68:69]
	v_fma_f64 v[62:63], v[32:33], s[12:13], -v[62:63]
	v_fma_f64 v[32:33], v[32:33], s[14:15], -v[68:69]
	v_mul_f64_e32 v[68:69], s[16:17], v[223:224]
	v_mul_f64_e32 v[148:149], s[20:21], v[148:149]
	v_fma_f64 v[142:143], v[209:210], s[2:3], -v[142:143]
	v_mul_f64_e32 v[239:240], s[16:17], v[44:45]
	v_add_f64_e32 v[170:171], v[170:171], v[2:3]
	v_mul_f64_e32 v[2:3], s[6:7], v[84:85]
	v_add_f64_e32 v[162:163], v[198:199], v[162:163]
	v_mul_f64_e32 v[198:199], s[16:17], v[221:222]
	v_fma_f64 v[217:218], v[217:218], s[16:17], v[78:79]
	v_fma_f64 v[231:232], v[4:5], s[12:13], -v[231:232]
	v_fma_f64 v[88:89], v[88:89], s[16:17], v[104:105]
	v_fma_f64 v[4:5], v[4:5], s[14:15], -v[104:105]
	v_mul_f64_e32 v[237:238], s[22:23], v[0:1]
	v_mul_f64_e32 v[104:105], s[6:7], v[166:167]
	v_fma_f64 v[84:85], v[84:85], s[6:7], -v[219:220]
	v_fma_f64 v[134:135], v[42:43], s[12:13], -v[134:135]
	v_fma_f64 v[70:71], v[70:71], s[16:17], v[168:169]
	v_fma_f64 v[42:43], v[42:43], s[14:15], -v[168:169]
	v_mul_f64_e32 v[168:169], s[6:7], v[130:131]
	v_mul_f64_e32 v[146:147], s[22:23], v[146:147]
	v_fma_f64 v[130:131], v[130:131], s[6:7], -v[229:230]
	v_fma_f64 v[209:210], v[209:210], s[10:11], v[207:208]
	v_fma_f64 v[46:47], v[46:47], s[6:7], -v[207:208]
	v_mul_f64_e32 v[207:208], s[6:7], v[154:155]
	v_fma_f64 v[36:37], v[36:37], s[18:19], v[243:244]
	v_fma_f64 v[152:153], v[82:83], s[12:13], -v[152:153]
	v_fma_f64 v[82:83], v[82:83], s[14:15], -v[78:79]
	v_mul_f64_e32 v[78:79], s[16:17], v[233:234]
	v_fma_f64 v[196:197], v[66:67], s[2:3], -v[196:197]
	v_fma_f64 v[66:67], v[66:67], s[10:11], v[215:216]
	v_fma_f64 v[215:216], v[80:81], s[6:7], -v[215:216]
	v_fma_f64 v[74:75], v[24:25], s[0:1], v[74:75]
	v_fma_f64 v[34:35], v[24:25], s[0:1], v[34:35]
	scratch_store_b128 off, v[243:246], off offset:56 ; 16-byte Folded Spill
	v_mul_f64_e32 v[247:248], s[22:23], v[52:53]
	v_mul_f64_e32 v[172:173], s[20:21], v[172:173]
	v_fma_f64 v[68:69], v[128:129], s[12:13], -v[68:69]
	v_fma_f64 v[142:143], v[58:59], s[0:1], v[142:143]
	v_fma_f64 v[241:242], v[188:189], s[2:3], -v[2:3]
	v_fma_f64 v[188:189], v[188:189], s[10:11], v[219:220]
	v_fma_f64 v[219:220], v[221:222], s[16:17], v[144:145]
	v_fma_f64 v[198:199], v[124:125], s[12:13], -v[198:199]
	v_fma_f64 v[124:125], v[124:125], s[14:15], -v[144:145]
	;; [unrolled: 1-line block ×3, first 2 shown]
	v_fma_f64 v[100:101], v[100:101], s[10:11], v[126:127]
	v_fma_f64 v[126:127], v[140:141], s[6:7], -v[126:127]
	v_add_f64_e32 v[140:141], v[176:177], v[178:179]
	ds_load_2addr_b64 v[0:3], v255 offset0:98 offset1:147
	v_fma_f64 v[221:222], v[225:226], s[10:11], v[229:230]
	v_fma_f64 v[44:45], v[44:45], s[16:17], v[237:238]
	;; [unrolled: 1-line block ×3, first 2 shown]
	v_fma_f64 v[168:169], v[225:226], s[2:3], -v[168:169]
	v_fma_f64 v[213:214], v[223:224], s[16:17], v[146:147]
	v_fma_f64 v[128:129], v[128:129], s[14:15], -v[146:147]
	v_fma_f64 v[209:210], v[58:59], s[0:1], v[209:210]
	v_fma_f64 v[225:226], v[233:234], s[16:17], v[235:236]
	v_fma_f64 v[207:208], v[132:133], s[2:3], -v[207:208]
	v_fma_f64 v[132:133], v[132:133], s[10:11], v[148:149]
	v_fma_f64 v[148:149], v[154:155], s[6:7], -v[148:149]
	v_fma_f64 v[154:155], v[158:159], s[12:13], -v[239:240]
	;; [unrolled: 1-line block ×4, first 2 shown]
	v_add_f64_e32 v[237:238], v[26:27], v[38:39]
	v_add_f64_e64 v[239:240], v[92:93], -v[26:27]
	v_fma_f64 v[156:157], v[156:157], s[14:15], -v[235:236]
	v_fma_f64 v[66:67], v[72:73], s[0:1], v[66:67]
	v_fma_f64 v[196:197], v[72:73], s[0:1], v[196:197]
	s_wait_dscnt 0x0
	v_add_f64_e32 v[80:81], v[2:3], v[160:161]
	v_fma_f64 v[2:3], v[30:31], s[18:19], v[245:246]
	v_fma_f64 v[30:31], v[60:61], s[2:3], -v[104:105]
	v_fma_f64 v[104:105], v[166:167], s[6:7], -v[112:113]
	v_fma_f64 v[166:167], v[24:25], s[0:1], v[28:29]
	v_add_f64_e64 v[24:25], v[26:27], -v[38:39]
	v_fma_f64 v[28:29], v[40:41], s[18:19], v[16:17]
	v_fma_f64 v[40:41], v[58:59], s[0:1], v[46:47]
	;; [unrolled: 1-line block ×3, first 2 shown]
	v_add_f64_e64 v[215:216], v[38:39], -v[92:93]
	v_fma_f64 v[26:27], v[50:51], s[18:19], v[20:21]
	v_fma_f64 v[60:61], v[60:61], s[10:11], v[112:113]
	v_fma_f64 v[72:73], v[106:107], s[0:1], v[188:189]
	v_add_f64_e32 v[223:224], v[12:13], v[200:201]
	v_add_f64_e32 v[112:113], v[182:183], v[186:187]
	v_fma_f64 v[100:101], v[136:137], s[0:1], v[100:101]
	v_fma_f64 v[126:127], v[136:137], s[0:1], v[126:127]
	v_add_f64_e32 v[140:141], v[180:181], v[140:141]
	v_add_f64_e32 v[146:147], v[116:117], v[118:119]
	;; [unrolled: 1-line block ×3, first 2 shown]
	v_fma_f64 v[188:189], v[106:107], s[0:1], v[241:242]
	v_add_f64_e64 v[106:107], v[12:13], -v[56:57]
	v_add_f64_e64 v[241:242], v[56:57], -v[200:201]
	v_add_f64_e32 v[42:43], v[42:43], v[36:37]
	v_fma_f64 v[130:131], v[76:77], s[0:1], v[130:131]
	v_add_f64_e64 v[233:234], v[176:177], -v[180:181]
	v_fma_f64 v[221:222], v[76:77], s[0:1], v[221:222]
	v_add_f64_e64 v[12:13], v[200:201], -v[12:13]
	v_fma_f64 v[251:252], v[150:151], s[0:1], v[132:133]
	v_fma_f64 v[132:133], v[150:151], s[0:1], v[207:208]
	;; [unrolled: 1-line block ×3, first 2 shown]
	v_mul_f64_e32 v[245:246], s[16:17], v[211:212]
	v_add_f64_e64 v[176:177], v[178:179], -v[176:177]
	v_fma_f64 v[211:212], v[211:212], s[16:17], v[247:248]
	v_fma_f64 v[150:151], v[164:165], s[0:1], v[104:105]
	v_mul_f64_e32 v[243:244], s[20:21], v[24:25]
	v_add_f64_e32 v[217:218], v[217:218], v[28:29]
	v_add_f64_e32 v[82:83], v[82:83], v[28:29]
	;; [unrolled: 1-line block ×3, first 2 shown]
	v_mul_f64_e32 v[249:250], s[6:7], v[215:216]
	v_add_f64_e32 v[198:199], v[198:199], v[26:27]
	v_fma_f64 v[253:254], v[164:165], s[0:1], v[60:61]
	v_add_f64_e32 v[124:125], v[124:125], v[26:27]
	v_add_f64_e32 v[104:105], v[219:220], v[26:27]
	;; [unrolled: 1-line block ×6, first 2 shown]
	v_fma_f64 v[0:1], v[76:77], s[0:1], v[168:169]
	v_fma_f64 v[168:169], v[164:165], s[0:1], v[30:31]
	v_add_f64_e32 v[112:113], v[90:91], v[112:113]
	v_add_f64_e32 v[146:147], v[190:191], v[146:147]
	v_mul_f64_e32 v[200:201], s[16:17], v[106:107]
	v_add_f64_e32 v[30:31], v[40:41], v[42:43]
	v_fma_f64 v[215:216], v[215:216], s[6:7], -v[243:244]
	v_add_f64_e32 v[60:61], v[58:59], v[82:83]
	v_add_f64_e32 v[52:53], v[196:197], v[152:153]
	v_add_f64_e64 v[76:77], v[124:125], -v[126:127]
	v_add_f64_e32 v[28:29], v[74:75], v[56:57]
	v_add_f64_e64 v[32:33], v[62:63], -v[34:35]
	v_fma_f64 v[140:141], v[140:141], s[18:19], v[10:11]
	v_fma_f64 v[200:201], v[12:13], s[12:13], -v[200:201]
	s_wait_loadcnt 0x0
	v_add_f64_e32 v[14:15], v[8:9], v[48:49]
	v_add_f64_e32 v[18:19], v[6:7], v[86:87]
	scratch_load_b128 v[6:9], off, off offset:80 th:TH_LOAD_LU ; 16-byte Folded Reload
	v_fma_f64 v[46:47], v[48:49], s[18:19], v[14:15]
	v_fma_f64 v[38:39], v[86:87], s[18:19], v[18:19]
	;; [unrolled: 1-line block ×4, first 2 shown]
	v_add_f64_e32 v[144:145], v[205:206], v[22:23]
	v_add_f64_e64 v[136:137], v[205:206], -v[22:23]
	v_add_f64_e64 v[160:161], v[22:23], -v[203:204]
	;; [unrolled: 1-line block ×3, first 2 shown]
	v_add_f64_e32 v[88:89], v[88:89], v[46:47]
	v_add_f64_e32 v[207:208], v[68:69], v[38:39]
	v_add_f64_e32 v[231:232], v[231:232], v[46:47]
	v_add_f64_e32 v[4:5], v[4:5], v[46:47]
	v_add_f64_e32 v[128:129], v[128:129], v[38:39]
	v_add_f64_e32 v[164:165], v[213:214], v[38:39]
	v_add_f64_e32 v[213:214], v[225:226], v[48:49]
	v_add_f64_e32 v[225:226], v[229:230], v[48:49]
	v_add_f64_e32 v[156:157], v[156:157], v[48:49]
	v_add_f64_e32 v[48:49], v[66:67], v[217:218]
	v_add_f64_e64 v[68:69], v[217:218], -v[66:67]
	v_add_f64_e32 v[144:145], v[203:204], v[144:145]
	v_fma_f64 v[203:204], v[239:240], s[10:11], v[243:244]
	v_fma_f64 v[229:230], v[239:240], s[2:3], -v[249:250]
	v_mul_f64_e32 v[217:218], s[22:23], v[241:242]
	v_mul_f64_e32 v[136:137], s[20:21], v[136:137]
	v_add_f64_e64 v[46:47], v[88:89], -v[72:73]
	v_add_f64_e32 v[66:67], v[72:73], v[88:89]
	v_add_f64_e32 v[72:73], v[86:87], v[198:199]
	v_add_f64_e64 v[88:89], v[198:199], -v[86:87]
	v_add_f64_e32 v[86:87], v[0:1], v[207:208]
	v_add_f64_e64 v[198:199], v[114:115], -v[94:95]
	v_add_f64_e64 v[114:115], v[102:103], -v[114:115]
	v_fma_f64 v[12:13], v[12:13], s[14:15], -v[217:218]
	v_fma_f64 v[106:107], v[106:107], s[16:17], v[217:218]
	s_delay_alu instid0(VALU_DEP_4) | instskip(NEXT) | instid1(VALU_DEP_1)
	v_mul_f64_e32 v[241:242], s[16:17], v[198:199]
	v_fma_f64 v[241:242], v[114:115], s[12:13], -v[241:242]
	s_wait_loadcnt 0x0
	v_add_f64_e32 v[78:79], v[8:9], v[54:55]
	v_add_f64_e32 v[8:9], v[6:7], v[112:113]
	s_delay_alu instid0(VALU_DEP_2)
	v_fma_f64 v[50:51], v[54:55], s[18:19], v[78:79]
	v_add_f64_e32 v[54:55], v[64:65], v[2:3]
	v_add_f64_e32 v[64:65], v[70:71], v[36:37]
	;; [unrolled: 1-line block ×4, first 2 shown]
	v_add_f64_e64 v[34:35], v[42:43], -v[40:41]
	v_add_f64_e64 v[40:41], v[56:57], -v[74:75]
	;; [unrolled: 1-line block ×4, first 2 shown]
	v_add_f64_e32 v[74:75], v[130:131], v[128:129]
	v_add_f64_e64 v[82:83], v[128:129], -v[130:131]
	v_add_f64_e64 v[130:131], v[108:109], -v[110:111]
	v_add_f64_e32 v[62:63], v[188:189], v[231:232]
	v_mul_f64_e32 v[134:135], s[16:17], v[233:234]
	v_fma_f64 v[112:113], v[112:113], s[18:19], v[8:9]
	v_add_f64_e32 v[219:220], v[44:45], v[50:51]
	v_add_f64_e32 v[24:25], v[166:167], v[54:55]
	v_add_f64_e64 v[44:45], v[54:55], -v[166:167]
	v_add_f64_e64 v[26:27], v[70:71], -v[142:143]
	v_add_f64_e32 v[38:39], v[142:143], v[70:71]
	v_add_f64_e64 v[70:71], v[207:208], -v[0:1]
	scratch_load_b64 v[0:1], off, off offset:72 th:TH_LOAD_LU ; 8-byte Folded Reload
	v_add_f64_e32 v[207:208], v[92:93], v[237:238]
	scratch_load_b128 v[237:240], off, off offset:40 th:TH_LOAD_LU ; 16-byte Folded Reload
	v_add_f64_e32 v[54:55], v[84:85], v[4:5]
	v_add_f64_e32 v[84:85], v[126:127], v[124:125]
	v_add_f64_e64 v[124:125], v[180:181], -v[178:179]
	v_add_f64_e32 v[126:127], v[94:95], v[235:236]
	v_add_f64_e64 v[142:143], v[190:191], -v[118:119]
	v_add_f64_e64 v[166:167], v[120:121], -v[122:123]
	;; [unrolled: 1-line block ×4, first 2 shown]
	ds_load_2addr_b64 v[4:7], v255 offset1:49
	v_add_f64_e32 v[154:155], v[154:155], v[50:51]
	v_add_f64_e32 v[158:159], v[158:159], v[50:51]
	v_add_f64_e64 v[22:23], v[64:65], -v[209:210]
	v_add_f64_e32 v[42:43], v[209:210], v[64:65]
	v_add_f64_e64 v[50:51], v[231:232], -v[188:189]
	v_add_f64_e64 v[64:65], v[152:153], -v[196:197]
	;; [unrolled: 1-line block ×4, first 2 shown]
	v_mul_f64_e32 v[231:232], s[6:7], v[160:161]
	v_add_f64_e64 v[152:153], v[94:95], -v[102:103]
	v_add_f64_e64 v[178:179], v[192:193], -v[194:195]
	;; [unrolled: 1-line block ×3, first 2 shown]
	v_mul_f64_e32 v[186:187], s[6:7], v[174:175]
	v_add_f64_e64 v[209:210], v[194:195], -v[184:185]
	v_add_f64_e32 v[122:123], v[120:121], v[122:123]
	v_mul_f64_e32 v[130:131], s[20:21], v[130:131]
	v_add_f64_e64 v[120:121], v[96:97], -v[120:121]
	v_add_f64_e64 v[116:117], v[118:119], -v[116:117]
	v_fma_f64 v[235:236], v[227:228], s[12:13], -v[245:246]
	s_wait_dscnt 0x0
	v_add_f64_e32 v[92:93], v[6:7], v[162:163]
	v_add_f64_e32 v[6:7], v[4:5], v[146:147]
	;; [unrolled: 1-line block ×3, first 2 shown]
	v_add_f64_e64 v[192:193], v[184:185], -v[192:193]
	v_fma_f64 v[134:135], v[176:177], s[12:13], -v[134:135]
	v_add_f64_e64 v[102:103], v[104:105], -v[100:101]
	v_fma_f64 v[227:228], v[227:228], s[14:15], -v[247:248]
	v_add_f64_e64 v[94:95], v[164:165], -v[221:222]
	v_mul_f64_e32 v[124:125], s[22:23], v[124:125]
	v_mul_f64_e32 v[142:143], s[22:23], v[142:143]
	;; [unrolled: 1-line block ×6, first 2 shown]
	v_fma_f64 v[231:232], v[205:206], s[2:3], -v[231:232]
	v_fma_f64 v[205:206], v[205:206], s[10:11], v[136:137]
	v_fma_f64 v[136:137], v[160:161], s[6:7], -v[136:137]
	v_mul_f64_e32 v[152:153], s[22:23], v[152:153]
	v_mul_f64_e32 v[178:179], s[20:21], v[178:179]
	v_fma_f64 v[186:187], v[138:139], s[2:3], -v[186:187]
	v_mul_f64_e32 v[160:161], s[6:7], v[209:210]
	v_add_f64_e32 v[122:123], v[96:97], v[122:123]
	v_add_f64_e32 v[96:97], v[100:101], v[104:105]
	v_fma_f64 v[162:163], v[162:163], s[18:19], v[92:93]
	v_fma_f64 v[146:147], v[146:147], s[18:19], v[6:7]
	v_fma_f64 v[190:191], v[190:191], s[16:17], v[142:143]
	v_fma_f64 v[100:101], v[116:117], s[14:15], -v[142:143]
	v_fma_f64 v[118:119], v[116:117], s[12:13], -v[118:119]
	;; [unrolled: 1-line block ×3, first 2 shown]
	v_fma_f64 v[198:199], v[198:199], s[16:17], v[152:153]
	v_fma_f64 v[114:115], v[114:115], s[14:15], -v[152:153]
	v_fma_f64 v[142:143], v[192:193], s[10:11], v[178:179]
	v_add_f64_e32 v[152:153], v[184:185], v[194:195]
	v_fma_f64 v[184:185], v[170:171], s[0:1], v[186:187]
	v_add_f64_e32 v[186:187], v[134:135], v[140:141]
	v_fma_f64 v[134:135], v[182:183], s[12:13], -v[217:218]
	v_fma_f64 v[160:161], v[192:193], s[2:3], -v[160:161]
	v_add_f64_e32 v[192:193], v[235:236], v[162:163]
	v_add_f64_e32 v[190:191], v[190:191], v[146:147]
	v_fma_f64 v[243:244], v[152:153], s[0:1], v[142:143]
	v_add_f64_e32 v[245:246], v[134:135], v[112:113]
	v_fma_f64 v[247:248], v[152:153], s[0:1], v[160:161]
	s_wait_loadcnt 0x1
	v_add_f64_e64 v[128:129], v[110:111], -v[0:1]
	v_add_f64_e32 v[110:111], v[108:109], v[110:111]
	s_wait_loadcnt 0x0
	v_add_f64_e32 v[90:91], v[239:240], v[223:224]
	v_add_f64_e64 v[108:109], v[0:1], -v[108:109]
	v_add_f64_e32 v[4:5], v[237:238], v[126:127]
	v_mul_f64_e32 v[239:240], s[6:7], v[180:181]
	v_mul_f64_e32 v[237:238], s[6:7], v[128:129]
	v_add_f64_e32 v[110:111], v[0:1], v[110:111]
	v_fma_f64 v[223:224], v[223:224], s[18:19], v[90:91]
	v_fma_f64 v[104:105], v[128:129], s[6:7], -v[130:131]
	v_fma_f64 v[126:127], v[126:127], s[18:19], v[4:5]
	v_fma_f64 v[239:240], v[120:121], s[2:3], -v[239:240]
	;; [unrolled: 2-line block ×3, first 2 shown]
	v_fma_f64 v[128:129], v[138:139], s[10:11], v[172:173]
	v_fma_f64 v[138:139], v[188:189], s[16:17], v[196:197]
	v_fma_f64 v[172:173], v[182:183], s[14:15], -v[196:197]
	v_fma_f64 v[174:175], v[209:210], s[6:7], -v[178:179]
	v_add_f64_e32 v[178:179], v[211:212], v[162:163]
	v_fma_f64 v[182:183], v[144:145], s[0:1], v[205:206]
	v_fma_f64 v[196:197], v[144:145], s[0:1], v[231:232]
	v_add_f64_e32 v[162:163], v[227:228], v[162:163]
	v_fma_f64 v[231:232], v[122:123], s[0:1], v[116:117]
	v_add_f64_e32 v[116:117], v[168:169], v[154:155]
	v_fma_f64 v[188:189], v[207:208], s[0:1], v[229:230]
	v_add_f64_e32 v[211:212], v[118:119], v[146:147]
	v_add_f64_e64 v[118:119], v[225:226], -v[132:133]
	v_fma_f64 v[237:238], v[108:109], s[2:3], -v[237:238]
	v_fma_f64 v[108:109], v[108:109], s[10:11], v[130:131]
	v_fma_f64 v[130:131], v[233:234], s[16:17], v[124:125]
	v_fma_f64 v[124:125], v[176:177], s[14:15], -v[124:125]
	v_fma_f64 v[176:177], v[207:208], s[0:1], v[203:204]
	v_add_f64_e32 v[12:13], v[12:13], v[223:224]
	v_fma_f64 v[203:204], v[144:145], s[0:1], v[136:137]
	v_fma_f64 v[235:236], v[170:171], s[0:1], v[166:167]
	v_add_f64_e32 v[194:195], v[200:201], v[223:224]
	v_fma_f64 v[200:201], v[207:208], s[0:1], v[215:216]
	v_add_f64_e32 v[215:216], v[241:242], v[126:127]
	v_fma_f64 v[217:218], v[122:123], s[0:1], v[239:240]
	v_fma_f64 v[227:228], v[110:111], s[0:1], v[104:105]
	v_add_f64_e64 v[104:105], v[154:155], -v[168:169]
	v_fma_f64 v[239:240], v[152:153], s[0:1], v[174:175]
	v_add_f64_e32 v[241:242], v[138:139], v[112:113]
	v_add_f64_e32 v[198:199], v[198:199], v[126:127]
	v_fma_f64 v[207:208], v[122:123], s[0:1], v[120:121]
	v_add_f64_e32 v[180:181], v[106:107], v[223:224]
	v_add_f64_e32 v[223:224], v[100:101], v[146:147]
	;; [unrolled: 1-line block ×5, first 2 shown]
	v_add_f64_e64 v[146:147], v[192:193], -v[188:189]
	v_fma_f64 v[221:222], v[170:171], s[0:1], v[128:129]
	v_add_f64_e32 v[106:107], v[132:133], v[225:226]
	v_add_f64_e32 v[134:135], v[188:189], v[192:193]
	;; [unrolled: 1-line block ×3, first 2 shown]
	v_add_f64_e64 v[122:123], v[213:214], -v[251:252]
	v_add_f64_e32 v[120:121], v[253:254], v[219:220]
	v_add_f64_e64 v[186:187], v[186:187], -v[184:185]
	v_add_f64_e32 v[184:185], v[247:248], v[245:246]
	v_fma_f64 v[209:210], v[110:111], s[0:1], v[237:238]
	v_fma_f64 v[205:206], v[110:111], s[0:1], v[108:109]
	v_add_f64_e32 v[233:234], v[130:131], v[140:141]
	v_add_f64_e32 v[124:125], v[124:125], v[140:141]
	;; [unrolled: 1-line block ×5, first 2 shown]
	v_add_f64_e64 v[140:141], v[12:13], -v[203:204]
	scratch_load_b64 v[12:13], off, off offset:216 th:TH_LOAD_LU ; 8-byte Folded Reload
	v_add_f64_e64 v[112:113], v[158:159], -v[150:151]
	v_add_f64_e32 v[130:131], v[176:177], v[178:179]
	v_add_f64_e64 v[150:151], v[178:179], -v[176:177]
	v_add_f64_e64 v[110:111], v[156:157], -v[148:149]
	v_add_f64_e32 v[156:157], v[217:218], v[215:216]
	v_add_f64_e32 v[144:145], v[196:197], v[194:195]
	v_add_f64_e64 v[138:139], v[162:163], -v[200:201]
	v_add_f64_e32 v[142:143], v[200:201], v[162:163]
	v_add_f64_e32 v[152:153], v[207:208], v[198:199]
	;; [unrolled: 1-line block ×3, first 2 shown]
	v_add_f64_e64 v[166:167], v[223:224], -v[227:228]
	v_add_f64_e32 v[164:165], v[231:232], v[229:230]
	v_add_f64_e32 v[162:163], v[227:228], v[223:224]
	v_add_f64_e64 v[160:161], v[229:230], -v[231:232]
	v_add_f64_e64 v[168:169], v[215:216], -v[217:218]
	;; [unrolled: 1-line block ×5, first 2 shown]
	v_add_f64_e32 v[180:181], v[243:244], v[241:242]
	v_add_f64_e64 v[196:197], v[241:242], -v[243:244]
	v_add_f64_e32 v[194:195], v[251:252], v[213:214]
	v_add_f64_e64 v[158:159], v[211:212], -v[209:210]
	v_add_f64_e64 v[154:155], v[190:191], -v[205:206]
	v_add_f64_e32 v[174:175], v[205:206], v[190:191]
	v_add_f64_e64 v[178:179], v[124:125], -v[235:236]
	v_add_f64_e32 v[190:191], v[235:236], v[124:125]
	scratch_load_b64 v[124:125], off, off offset:24 th:TH_LOAD_LU ; 8-byte Folded Reload
	v_add_f64_e32 v[170:171], v[209:210], v[211:212]
	s_wait_loadcnt 0x1
	v_mov_b32_e32 v13, v99
	v_add_f64_e32 v[176:177], v[239:240], v[237:238]
	v_add_f64_e64 v[182:183], v[233:234], -v[221:222]
	v_add_f64_e64 v[188:189], v[237:238], -v[239:240]
	v_add_f64_e32 v[198:199], v[221:222], v[233:234]
	v_lshlrev_b64_e32 v[12:13], 4, v[12:13]
	s_wait_loadcnt 0x0
	v_add_co_u32 v98, vcc_lo, s8, v124
	s_wait_alu 0xfffd
	v_add_co_ci_u32_e32 v192, vcc_lo, s9, v125, vcc_lo
	v_add_f64_e64 v[124:125], v[245:246], -v[247:248]
	s_delay_alu instid0(VALU_DEP_3) | instskip(SKIP_1) | instid1(VALU_DEP_3)
	v_add_co_u32 v12, vcc_lo, v98, v12
	s_wait_alu 0xfffd
	v_add_co_ci_u32_e32 v13, vcc_lo, v192, v13, vcc_lo
	s_clause 0x7
	global_store_b128 v[12:13], v[4:7], off
	global_store_b128 v[12:13], v[90:93], off offset:784
	global_store_b128 v[12:13], v[152:155], off offset:5488
	global_store_b128 v[12:13], v[148:151], off offset:6272
	global_store_b128 v[12:13], v[156:159], off offset:10976
	global_store_b128 v[12:13], v[144:147], off offset:11760
	global_store_b128 v[12:13], v[160:163], off offset:16464
	global_store_b128 v[12:13], v[140:143], off offset:17248
	scratch_load_b32 v4, off, off offset:16 th:TH_LOAD_LU ; 4-byte Folded Reload
	s_clause 0x7
	global_store_b128 v[12:13], v[164:167], off offset:21952
	global_store_b128 v[12:13], v[136:139], off offset:22736
	;; [unrolled: 1-line block ×8, first 2 shown]
	scratch_load_b32 v1, off, off th:TH_LOAD_LU ; 4-byte Folded Reload
	s_clause 0x9
	global_store_b128 v[12:13], v[180:183], off offset:7056
	global_store_b128 v[12:13], v[120:123], off offset:7840
	;; [unrolled: 1-line block ×10, first 2 shown]
	v_add_f64_e64 v[192:193], v[219:220], -v[253:254]
	s_wait_loadcnt 0x1
	v_mul_hi_u32 v4, 0xbf112a8b, v4
	s_wait_loadcnt 0x0
	v_mul_hi_u32 v1, 0xbf112a8b, v1
	s_delay_alu instid0(VALU_DEP_2) | instskip(NEXT) | instid1(VALU_DEP_2)
	v_lshrrev_b32_e32 v0, 8, v4
	v_lshrrev_b32_e32 v2, 8, v1
	s_delay_alu instid0(VALU_DEP_2) | instskip(NEXT) | instid1(VALU_DEP_1)
	v_mul_u32_u24_e32 v98, 0x80a, v0
	v_lshlrev_b64_e32 v[0:1], 4, v[98:99]
	s_delay_alu instid0(VALU_DEP_3)
	v_mul_u32_u24_e32 v98, 0x80a, v2
	scratch_load_b32 v2, off, off offset:32 th:TH_LOAD_LU ; 4-byte Folded Reload
	s_clause 0x1
	global_store_b128 v[12:13], v[196:199], off offset:34496
	global_store_b128 v[12:13], v[192:195], off offset:35280
	v_add_co_u32 v0, vcc_lo, v12, v0
	s_wait_alu 0xfffd
	v_add_co_ci_u32_e32 v1, vcc_lo, v13, v1, vcc_lo
	s_clause 0x3
	global_store_b128 v[0:1], v[18:21], off offset:3136
	global_store_b128 v[0:1], v[100:103], off offset:8624
	;; [unrolled: 1-line block ×4, first 2 shown]
	s_wait_loadcnt 0x0
	v_mul_hi_u32 v4, 0xbf112a8b, v2
	v_lshlrev_b64_e32 v[2:3], 4, v[98:99]
	s_delay_alu instid0(VALU_DEP_1) | instskip(NEXT) | instid1(VALU_DEP_3)
	v_add_co_u32 v2, vcc_lo, v12, v2
	v_lshrrev_b32_e32 v4, 8, v4
	s_wait_alu 0xfffd
	s_delay_alu instid0(VALU_DEP_3)
	v_add_co_ci_u32_e32 v3, vcc_lo, v13, v3, vcc_lo
	s_clause 0x9
	global_store_b128 v[0:1], v[74:77], off offset:25088
	global_store_b128 v[0:1], v[70:73], off offset:30576
	;; [unrolled: 1-line block ×10, first 2 shown]
	v_mul_u32_u24_e32 v98, 0x80a, v4
	s_delay_alu instid0(VALU_DEP_1) | instskip(NEXT) | instid1(VALU_DEP_1)
	v_lshlrev_b64_e32 v[4:5], 4, v[98:99]
	v_add_co_u32 v0, vcc_lo, v12, v4
	s_wait_alu 0xfffd
	s_delay_alu instid0(VALU_DEP_2)
	v_add_co_ci_u32_e32 v1, vcc_lo, v13, v5, vcc_lo
	scratch_load_b128 v[2:5], off, off offset:56 th:TH_LOAD_LU ; 16-byte Folded Reload
	s_wait_loadcnt 0x0
	s_clause 0x6
	global_store_b128 v[0:1], v[2:5], off offset:4704
	global_store_b128 v[0:1], v[42:45], off offset:10192
	;; [unrolled: 1-line block ×7, first 2 shown]
.LBB0_13:
	s_endpgm
	.section	.rodata,"a",@progbits
	.p2align	6, 0x0
	.amdhsa_kernel fft_rtc_fwd_len2401_factors_7_7_7_7_wgs_49_tpt_49_halfLds_dp_ip_CI_unitstride_sbrr_dirReg
		.amdhsa_group_segment_fixed_size 0
		.amdhsa_private_segment_fixed_size 380
		.amdhsa_kernarg_size 88
		.amdhsa_user_sgpr_count 2
		.amdhsa_user_sgpr_dispatch_ptr 0
		.amdhsa_user_sgpr_queue_ptr 0
		.amdhsa_user_sgpr_kernarg_segment_ptr 1
		.amdhsa_user_sgpr_dispatch_id 0
		.amdhsa_user_sgpr_private_segment_size 0
		.amdhsa_wavefront_size32 1
		.amdhsa_uses_dynamic_stack 0
		.amdhsa_enable_private_segment 1
		.amdhsa_system_sgpr_workgroup_id_x 1
		.amdhsa_system_sgpr_workgroup_id_y 0
		.amdhsa_system_sgpr_workgroup_id_z 0
		.amdhsa_system_sgpr_workgroup_info 0
		.amdhsa_system_vgpr_workitem_id 0
		.amdhsa_next_free_vgpr 256
		.amdhsa_next_free_sgpr 32
		.amdhsa_reserve_vcc 1
		.amdhsa_float_round_mode_32 0
		.amdhsa_float_round_mode_16_64 0
		.amdhsa_float_denorm_mode_32 3
		.amdhsa_float_denorm_mode_16_64 3
		.amdhsa_fp16_overflow 0
		.amdhsa_workgroup_processor_mode 1
		.amdhsa_memory_ordered 1
		.amdhsa_forward_progress 0
		.amdhsa_round_robin_scheduling 0
		.amdhsa_exception_fp_ieee_invalid_op 0
		.amdhsa_exception_fp_denorm_src 0
		.amdhsa_exception_fp_ieee_div_zero 0
		.amdhsa_exception_fp_ieee_overflow 0
		.amdhsa_exception_fp_ieee_underflow 0
		.amdhsa_exception_fp_ieee_inexact 0
		.amdhsa_exception_int_div_zero 0
	.end_amdhsa_kernel
	.text
.Lfunc_end0:
	.size	fft_rtc_fwd_len2401_factors_7_7_7_7_wgs_49_tpt_49_halfLds_dp_ip_CI_unitstride_sbrr_dirReg, .Lfunc_end0-fft_rtc_fwd_len2401_factors_7_7_7_7_wgs_49_tpt_49_halfLds_dp_ip_CI_unitstride_sbrr_dirReg
                                        ; -- End function
	.section	.AMDGPU.csdata,"",@progbits
; Kernel info:
; codeLenInByte = 31220
; NumSgprs: 34
; NumVgprs: 256
; ScratchSize: 380
; MemoryBound: 1
; FloatMode: 240
; IeeeMode: 1
; LDSByteSize: 0 bytes/workgroup (compile time only)
; SGPRBlocks: 4
; VGPRBlocks: 31
; NumSGPRsForWavesPerEU: 34
; NumVGPRsForWavesPerEU: 256
; Occupancy: 5
; WaveLimiterHint : 1
; COMPUTE_PGM_RSRC2:SCRATCH_EN: 1
; COMPUTE_PGM_RSRC2:USER_SGPR: 2
; COMPUTE_PGM_RSRC2:TRAP_HANDLER: 0
; COMPUTE_PGM_RSRC2:TGID_X_EN: 1
; COMPUTE_PGM_RSRC2:TGID_Y_EN: 0
; COMPUTE_PGM_RSRC2:TGID_Z_EN: 0
; COMPUTE_PGM_RSRC2:TIDIG_COMP_CNT: 0
	.text
	.p2alignl 7, 3214868480
	.fill 96, 4, 3214868480
	.type	__hip_cuid_171db7206c9060bd,@object ; @__hip_cuid_171db7206c9060bd
	.section	.bss,"aw",@nobits
	.globl	__hip_cuid_171db7206c9060bd
__hip_cuid_171db7206c9060bd:
	.byte	0                               ; 0x0
	.size	__hip_cuid_171db7206c9060bd, 1

	.ident	"AMD clang version 19.0.0git (https://github.com/RadeonOpenCompute/llvm-project roc-6.4.0 25133 c7fe45cf4b819c5991fe208aaa96edf142730f1d)"
	.section	".note.GNU-stack","",@progbits
	.addrsig
	.addrsig_sym __hip_cuid_171db7206c9060bd
	.amdgpu_metadata
---
amdhsa.kernels:
  - .args:
      - .actual_access:  read_only
        .address_space:  global
        .offset:         0
        .size:           8
        .value_kind:     global_buffer
      - .offset:         8
        .size:           8
        .value_kind:     by_value
      - .actual_access:  read_only
        .address_space:  global
        .offset:         16
        .size:           8
        .value_kind:     global_buffer
      - .actual_access:  read_only
        .address_space:  global
        .offset:         24
        .size:           8
        .value_kind:     global_buffer
      - .offset:         32
        .size:           8
        .value_kind:     by_value
      - .actual_access:  read_only
        .address_space:  global
        .offset:         40
        .size:           8
        .value_kind:     global_buffer
      - .actual_access:  read_only
        .address_space:  global
        .offset:         48
        .size:           8
        .value_kind:     global_buffer
      - .offset:         56
        .size:           4
        .value_kind:     by_value
      - .actual_access:  read_only
        .address_space:  global
        .offset:         64
        .size:           8
        .value_kind:     global_buffer
      - .actual_access:  read_only
        .address_space:  global
        .offset:         72
        .size:           8
        .value_kind:     global_buffer
      - .address_space:  global
        .offset:         80
        .size:           8
        .value_kind:     global_buffer
    .group_segment_fixed_size: 0
    .kernarg_segment_align: 8
    .kernarg_segment_size: 88
    .language:       OpenCL C
    .language_version:
      - 2
      - 0
    .max_flat_workgroup_size: 49
    .name:           fft_rtc_fwd_len2401_factors_7_7_7_7_wgs_49_tpt_49_halfLds_dp_ip_CI_unitstride_sbrr_dirReg
    .private_segment_fixed_size: 380
    .sgpr_count:     34
    .sgpr_spill_count: 0
    .symbol:         fft_rtc_fwd_len2401_factors_7_7_7_7_wgs_49_tpt_49_halfLds_dp_ip_CI_unitstride_sbrr_dirReg.kd
    .uniform_work_group_size: 1
    .uses_dynamic_stack: false
    .vgpr_count:     256
    .vgpr_spill_count: 169
    .wavefront_size: 32
    .workgroup_processor_mode: 1
amdhsa.target:   amdgcn-amd-amdhsa--gfx1201
amdhsa.version:
  - 1
  - 2
...

	.end_amdgpu_metadata
